;; amdgpu-corpus repo=ROCm/rocFFT kind=compiled arch=gfx1201 opt=O3
	.text
	.amdgcn_target "amdgcn-amd-amdhsa--gfx1201"
	.amdhsa_code_object_version 6
	.protected	bluestein_single_fwd_len784_dim1_sp_op_CI_CI ; -- Begin function bluestein_single_fwd_len784_dim1_sp_op_CI_CI
	.globl	bluestein_single_fwd_len784_dim1_sp_op_CI_CI
	.p2align	8
	.type	bluestein_single_fwd_len784_dim1_sp_op_CI_CI,@function
bluestein_single_fwd_len784_dim1_sp_op_CI_CI: ; @bluestein_single_fwd_len784_dim1_sp_op_CI_CI
; %bb.0:
	s_load_b128 s[16:19], s[0:1], 0x28
	v_mul_u32_u24_e32 v1, 0x493, v0
	s_mov_b32 s2, exec_lo
	v_mov_b32_e32 v89, 0
	s_delay_alu instid0(VALU_DEP_2) | instskip(NEXT) | instid1(VALU_DEP_1)
	v_lshrrev_b32_e32 v1, 16, v1
	v_add_nc_u32_e32 v88, ttmp9, v1
	s_wait_kmcnt 0x0
	s_delay_alu instid0(VALU_DEP_1)
	v_cmpx_gt_u64_e64 s[16:17], v[88:89]
	s_cbranch_execz .LBB0_2
; %bb.1:
	s_clause 0x1
	s_load_b128 s[4:7], s[0:1], 0x18
	s_load_b128 s[8:11], s[0:1], 0x0
	v_mul_lo_u16 v1, v1, 56
	s_movk_i32 s2, 0xf580
	s_mov_b32 s3, -1
	s_delay_alu instid0(VALU_DEP_1) | instskip(NEXT) | instid1(VALU_DEP_1)
	v_sub_nc_u16 v0, v0, v1
	v_and_b32_e32 v100, 0xffff, v0
	s_wait_kmcnt 0x0
	s_load_b128 s[12:15], s[4:5], 0x0
	s_wait_kmcnt 0x0
	v_mad_co_u64_u32 v[0:1], null, s14, v88, 0
	v_mad_co_u64_u32 v[2:3], null, s12, v100, 0
	s_mul_u64 s[4:5], s[12:13], 0xc40
	s_delay_alu instid0(VALU_DEP_1) | instskip(SKIP_1) | instid1(VALU_DEP_1)
	v_mad_co_u64_u32 v[4:5], null, s15, v88, v[1:2]
	s_mul_u64 s[14:15], s[12:13], s[2:3]
	v_mov_b32_e32 v1, v4
	s_delay_alu instid0(VALU_DEP_3) | instskip(SKIP_2) | instid1(VALU_DEP_4)
	v_mad_co_u64_u32 v[5:6], null, s13, v100, v[3:4]
	v_or_b32_e32 v95, 0x1c0, v100
	v_mad_co_u64_u32 v[54:55], null, v100, 48, s[10:11]
	v_lshlrev_b64_e32 v[0:1], 3, v[0:1]
	v_lshlrev_b32_e32 v96, 3, v100
	v_and_b32_e32 v43, 1, v100
	v_mov_b32_e32 v3, v5
	v_mad_co_u64_u32 v[4:5], null, s12, v95, 0
	v_add_co_u32 v12, vcc_lo, s18, v0
	s_delay_alu instid0(VALU_DEP_3)
	v_lshlrev_b64_e32 v[2:3], 3, v[2:3]
	v_add_co_ci_u32_e32 v13, vcc_lo, s19, v1, vcc_lo
	s_clause 0x8
	global_load_b64 v[60:61], v96, s[8:9] offset:3136
	global_load_b64 v[68:69], v96, s[8:9]
	global_load_b64 v[66:67], v96, s[8:9] offset:448
	global_load_b64 v[64:65], v96, s[8:9] offset:896
	;; [unrolled: 1-line block ×7, first 2 shown]
	v_add_co_u32 v0, vcc_lo, v12, v2
	s_wait_alu 0xfffd
	v_add_co_ci_u32_e32 v1, vcc_lo, v13, v3, vcc_lo
	s_clause 0x1
	global_load_b64 v[80:81], v96, s[8:9] offset:1792
	global_load_b64 v[78:79], v96, s[8:9] offset:2240
	v_add_co_u32 v2, vcc_lo, v0, s4
	s_wait_alu 0xfffd
	v_add_co_ci_u32_e32 v3, vcc_lo, s5, v1, vcc_lo
	v_lshlrev_b32_e32 v49, 4, v100
	s_wait_alu 0xfffe
	v_add_co_u32 v6, vcc_lo, v2, s14
	s_wait_alu 0xfffd
	v_add_co_ci_u32_e32 v7, vcc_lo, s15, v3, vcc_lo
	s_delay_alu instid0(VALU_DEP_2) | instskip(NEXT) | instid1(VALU_DEP_2)
	v_mad_co_u64_u32 v[8:9], null, s13, v95, v[5:6]
	v_mad_co_u64_u32 v[9:10], null, 0x1c0, s12, v[6:7]
	s_delay_alu instid0(VALU_DEP_1) | instskip(NEXT) | instid1(VALU_DEP_1)
	v_dual_mov_b32 v5, v8 :: v_dual_mov_b32 v8, v10
	v_lshlrev_b64_e32 v[4:5], 3, v[4:5]
	s_delay_alu instid0(VALU_DEP_2) | instskip(NEXT) | instid1(VALU_DEP_2)
	v_mad_co_u64_u32 v[10:11], null, 0x1c0, s13, v[8:9]
	v_add_co_u32 v4, vcc_lo, v12, v4
	s_wait_alu 0xfffd
	s_delay_alu instid0(VALU_DEP_3) | instskip(SKIP_2) | instid1(VALU_DEP_4)
	v_add_co_ci_u32_e32 v5, vcc_lo, v13, v5, vcc_lo
	v_add_co_u32 v11, vcc_lo, v9, s4
	s_wait_alu 0xfffd
	v_add_co_ci_u32_e32 v12, vcc_lo, s5, v10, vcc_lo
	global_load_b64 v[82:83], v96, s[8:9] offset:5376
	s_clause 0x2
	global_load_b64 v[0:1], v[0:1], off
	global_load_b64 v[2:3], v[2:3], off
	global_load_b64 v[4:5], v[4:5], off
	v_add_co_u32 v13, vcc_lo, v11, s14
	s_wait_alu 0xfffd
	v_add_co_ci_u32_e32 v14, vcc_lo, s15, v12, vcc_lo
	global_load_b64 v[8:9], v[9:10], off
	v_add_co_u32 v15, vcc_lo, v13, s4
	s_wait_alu 0xfffd
	v_add_co_ci_u32_e32 v16, vcc_lo, s5, v14, vcc_lo
	s_clause 0x1
	global_load_b64 v[10:11], v[11:12], off
	global_load_b64 v[6:7], v[6:7], off
	v_add_co_u32 v17, vcc_lo, v15, s14
	s_wait_alu 0xfffd
	v_add_co_ci_u32_e32 v18, vcc_lo, s15, v16, vcc_lo
	global_load_b64 v[12:13], v[13:14], off
	v_add_co_u32 v19, vcc_lo, v17, s4
	s_wait_alu 0xfffd
	v_add_co_ci_u32_e32 v20, vcc_lo, s5, v18, vcc_lo
	;; [unrolled: 4-line block ×4, first 2 shown]
	global_load_b64 v[18:19], v[19:20], off
	global_load_b64 v[20:21], v[21:22], off
	v_add_co_u32 v25, vcc_lo, v23, s14
	s_wait_alu 0xfffd
	v_add_co_ci_u32_e32 v26, vcc_lo, s15, v24, vcc_lo
	global_load_b64 v[22:23], v[23:24], off
	v_add_co_u32 v27, vcc_lo, v25, s4
	s_wait_alu 0xfffd
	v_add_co_ci_u32_e32 v28, vcc_lo, s5, v26, vcc_lo
	global_load_b64 v[84:85], v96, s[8:9] offset:2688
	global_load_b64 v[24:25], v[25:26], off
	global_load_b64 v[86:87], v96, s[8:9] offset:5824
	global_load_b64 v[26:27], v[27:28], off
	v_add_nc_u32_e32 v99, 0x800, v96
	v_add_nc_u32_e32 v97, 0x1000, v96
	;; [unrolled: 1-line block ×3, first 2 shown]
	s_load_b128 s[4:7], s[6:7], 0x0
	s_wait_kmcnt 0x0
	s_mul_u64 s[2:3], s[4:5], s[2:3]
	s_wait_loadcnt 0xf
	v_mul_f32_e32 v28, v1, v69
	s_wait_loadcnt 0xe
	v_mul_f32_e32 v29, v2, v61
	v_mul_f32_e32 v30, v3, v61
	s_wait_loadcnt 0xd
	v_dual_mul_f32 v33, v0, v69 :: v_dual_mul_f32 v32, v5, v75
	v_mul_f32_e32 v34, v4, v75
	v_fma_f32 v31, v3, v60, -v29
	v_fmac_f32_e32 v30, v2, v60
	v_fmac_f32_e32 v28, v0, v68
	v_fma_f32 v29, v1, v68, -v33
	v_fmac_f32_e32 v32, v4, v74
	v_fma_f32 v33, v5, v74, -v34
	s_wait_loadcnt 0xa
	v_mul_f32_e32 v2, v7, v67
	v_dual_mul_f32 v3, v6, v67 :: v_dual_mul_f32 v4, v11, v73
	v_mul_f32_e32 v5, v10, v73
	v_mul_f32_e32 v0, v9, v65
	s_delay_alu instid0(VALU_DEP_4) | instskip(NEXT) | instid1(VALU_DEP_4)
	v_fmac_f32_e32 v2, v6, v66
	v_fma_f32 v3, v7, v66, -v3
	v_mul_f32_e32 v1, v8, v65
	v_fma_f32 v5, v11, v72, -v5
	ds_store_b64 v96, v[30:31] offset:3136
	s_wait_loadcnt 0x9
	v_mul_f32_e32 v6, v13, v63
	v_mul_f32_e32 v7, v12, v63
	v_fmac_f32_e32 v0, v8, v64
	v_fma_f32 v1, v9, v64, -v1
	s_delay_alu instid0(VALU_DEP_4) | instskip(NEXT) | instid1(VALU_DEP_4)
	v_fmac_f32_e32 v6, v12, v62
	v_fma_f32 v7, v13, v62, -v7
	s_wait_loadcnt 0x5
	v_dual_mul_f32 v8, v19, v77 :: v_dual_mul_f32 v11, v20, v79
	v_fmac_f32_e32 v4, v10, v72
	ds_store_2addr_b64 v96, v[28:29], v[2:3] offset1:56
	ds_store_2addr_b64 v99, v[32:33], v[4:5] offset0:192 offset1:248
	v_mul_f32_e32 v2, v15, v71
	v_dual_mul_f32 v3, v14, v71 :: v_dual_mul_f32 v4, v17, v81
	v_mul_f32_e32 v5, v16, v81
	v_dual_mul_f32 v9, v18, v77 :: v_dual_mul_f32 v10, v21, v79
	s_delay_alu instid0(VALU_DEP_4) | instskip(NEXT) | instid1(VALU_DEP_4)
	v_fmac_f32_e32 v2, v14, v70
	v_fma_f32 v3, v15, v70, -v3
	s_wait_loadcnt 0x2
	v_mul_f32_e32 v14, v25, v85
	v_mul_f32_e32 v15, v24, v85
	v_fma_f32 v5, v17, v80, -v5
	v_mul_f32_e32 v12, v23, v83
	v_mul_f32_e32 v13, v22, v83
	s_wait_loadcnt 0x0
	v_dual_mul_f32 v17, v26, v87 :: v_dual_fmac_f32 v4, v16, v80
	v_mul_f32_e32 v16, v27, v87
	v_fmac_f32_e32 v8, v18, v76
	v_fma_f32 v9, v19, v76, -v9
	v_fmac_f32_e32 v10, v20, v78
	v_fma_f32 v11, v21, v78, -v11
	;; [unrolled: 2-line block ×5, first 2 shown]
	ds_store_2addr_b64 v96, v[0:1], v[6:7] offset0:112 offset1:168
	ds_store_2addr_b64 v97, v[2:3], v[8:9] offset0:48 offset1:104
	;; [unrolled: 1-line block ×3, first 2 shown]
	ds_store_b64 v96, v[14:15] offset:2688
	ds_store_2addr_b64 v97, v[12:13], v[16:17] offset0:160 offset1:216
	global_wb scope:SCOPE_SE
	s_wait_dscnt 0x0
	s_barrier_signal -1
	s_barrier_wait -1
	global_inv scope:SCOPE_SE
	ds_load_2addr_b64 v[1:4], v96 offset1:56
	ds_load_2addr_b64 v[5:8], v99 offset0:80 offset1:136
	ds_load_2addr_b64 v[9:12], v99 offset0:192 offset1:248
	;; [unrolled: 1-line block ×6, first 2 shown]
	v_lshlrev_b32_e32 v0, 1, v100
	global_wb scope:SCOPE_SE
	s_wait_dscnt 0x0
	s_barrier_signal -1
	s_barrier_wait -1
	global_inv scope:SCOPE_SE
	v_dual_sub_f32 v29, v1, v7 :: v_dual_lshlrev_b32 v48, 3, v0
	v_dual_sub_f32 v30, v2, v8 :: v_dual_sub_f32 v9, v3, v9
	v_dual_sub_f32 v10, v4, v10 :: v_dual_sub_f32 v33, v13, v11
	v_dual_sub_f32 v34, v14, v12 :: v_dual_sub_f32 v17, v15, v17
	v_dual_sub_f32 v18, v16, v18 :: v_dual_sub_f32 v37, v21, v19
	v_dual_sub_f32 v38, v22, v20 :: v_dual_sub_f32 v25, v23, v25
	v_dual_sub_f32 v26, v24, v26 :: v_dual_sub_f32 v41, v5, v27
	v_sub_f32_e32 v42, v6, v28
	v_fma_f32 v27, v1, 2.0, -v29
	v_fma_f32 v28, v2, 2.0, -v30
	v_fma_f32 v7, v3, 2.0, -v9
	v_fma_f32 v8, v4, 2.0, -v10
	v_fma_f32 v31, v13, 2.0, -v33
	v_fma_f32 v32, v14, 2.0, -v34
	v_fma_f32 v15, v15, 2.0, -v17
	v_fma_f32 v16, v16, 2.0, -v18
	v_fma_f32 v35, v21, 2.0, -v37
	v_fma_f32 v36, v22, 2.0, -v38
	v_fma_f32 v23, v23, 2.0, -v25
	v_fma_f32 v24, v24, 2.0, -v26
	v_fma_f32 v39, v5, 2.0, -v41
	v_fma_f32 v40, v6, 2.0, -v42
	ds_store_b128 v49, v[27:30]
	ds_store_b128 v49, v[7:10] offset:896
	ds_store_b128 v48, v[31:34] offset:1792
	ds_store_b128 v48, v[15:18] offset:2688
	ds_store_b128 v48, v[35:38] offset:3584
	ds_store_b128 v48, v[23:26] offset:4480
	ds_store_b128 v48, v[39:42] offset:5376
	global_wb scope:SCOPE_SE
	s_wait_dscnt 0x0
	s_barrier_signal -1
	s_barrier_wait -1
	global_inv scope:SCOPE_SE
	ds_load_2addr_b64 v[11:14], v99 offset0:192 offset1:248
	v_lshlrev_b32_e32 v44, 3, v43
	v_and_or_b32 v7, 0x7c, v0, v43
	v_and_b32_e32 v23, 3, v100
	global_load_b64 v[89:90], v44, s[10:11]
	v_lshlrev_b32_e32 v101, 3, v7
	ds_load_2addr_b64 v[7:10], v99 offset0:80 offset1:136
	v_lshlrev_b32_e32 v37, 3, v23
	s_wait_loadcnt_dscnt 0x0
	v_dual_mul_f32 v39, v9, v90 :: v_dual_add_nc_u32 v4, 0xe0, v0
	v_add_nc_u32_e32 v5, 0x150, v0
	v_dual_mul_f32 v41, v11, v90 :: v_dual_add_nc_u32 v6, 0x1c0, v0
	v_add_nc_u32_e32 v1, 0x230, v0
	s_delay_alu instid0(VALU_DEP_4) | instskip(NEXT) | instid1(VALU_DEP_4)
	v_and_or_b32 v19, 0x1fc, v4, v43
	v_and_or_b32 v20, 0x1fc, v5, v43
	s_delay_alu instid0(VALU_DEP_4) | instskip(SKIP_4) | instid1(VALU_DEP_4)
	v_fmac_f32_e32 v41, v12, v89
	v_and_or_b32 v21, 0x3fc, v6, v43
	v_and_or_b32 v25, 0x2fc, v1, v43
	v_lshlrev_b32_e32 v103, 3, v19
	v_dual_fmac_f32 v39, v10, v89 :: v_dual_lshlrev_b32 v104, 3, v20
	v_lshlrev_b32_e32 v105, 3, v21
	ds_load_2addr_b64 v[19:22], v97 offset0:160 offset1:216
	s_wait_dscnt 0x0
	v_dual_mul_f32 v51, v19, v90 :: v_dual_add_nc_u32 v24, 56, v100
	s_delay_alu instid0(VALU_DEP_1) | instskip(SKIP_2) | instid1(VALU_DEP_4)
	v_lshlrev_b32_e32 v3, 1, v24
	v_mul_f32_e32 v53, v21, v90
	v_mul_f32_e32 v40, v12, v90
	v_dual_mul_f32 v52, v22, v90 :: v_dual_fmac_f32 v51, v20, v89
	s_delay_alu instid0(VALU_DEP_4) | instskip(NEXT) | instid1(VALU_DEP_4)
	v_and_or_b32 v15, 0xfc, v3, v43
	v_fmac_f32_e32 v53, v22, v89
	s_delay_alu instid0(VALU_DEP_4)
	v_fma_f32 v11, v11, v89, -v40
	v_lshlrev_b32_e32 v106, 3, v25
	v_fma_f32 v21, v21, v89, -v52
	v_lshlrev_b32_e32 v102, 3, v15
	ds_load_2addr_b64 v[15:18], v97 offset0:48 offset1:104
	v_sub_f32_e32 v22, v8, v53
	v_sub_f32_e32 v21, v7, v21
	s_delay_alu instid0(VALU_DEP_2) | instskip(NEXT) | instid1(VALU_DEP_2)
	v_fma_f32 v8, v8, 2.0, -v22
	v_fma_f32 v7, v7, 2.0, -v21
	s_wait_dscnt 0x0
	v_dual_mul_f32 v45, v15, v90 :: v_dual_add_nc_u32 v2, 0x2a0, v0
	v_mul_f32_e32 v47, v17, v90
	s_delay_alu instid0(VALU_DEP_2) | instskip(NEXT) | instid1(VALU_DEP_3)
	v_fmac_f32_e32 v45, v16, v89
	v_and_or_b32 v26, 0x3fc, v2, v43
	v_mul_f32_e32 v43, v13, v90
	s_delay_alu instid0(VALU_DEP_4) | instskip(NEXT) | instid1(VALU_DEP_3)
	v_fmac_f32_e32 v47, v18, v89
	v_lshlrev_b32_e32 v107, 3, v26
	ds_load_2addr_b64 v[25:28], v96 offset1:56
	ds_load_2addr_b64 v[29:32], v96 offset0:112 offset1:168
	ds_load_2addr_b64 v[33:36], v98 offset0:96 offset1:152
	v_mul_f32_e32 v38, v10, v90
	v_mul_f32_e32 v42, v14, v90
	;; [unrolled: 1-line block ×5, first 2 shown]
	v_fma_f32 v9, v9, v89, -v38
	v_fma_f32 v13, v13, v89, -v42
	v_fmac_f32_e32 v43, v14, v89
	v_fma_f32 v15, v15, v89, -v44
	v_fma_f32 v17, v17, v89, -v46
	;; [unrolled: 1-line block ×3, first 2 shown]
	global_wb scope:SCOPE_SE
	s_wait_dscnt 0x0
	s_barrier_signal -1
	s_barrier_wait -1
	global_inv scope:SCOPE_SE
	v_dual_sub_f32 v9, v25, v9 :: v_dual_sub_f32 v10, v26, v39
	v_dual_sub_f32 v11, v27, v11 :: v_dual_sub_f32 v12, v28, v41
	;; [unrolled: 1-line block ×5, first 2 shown]
	v_sub_f32_e32 v19, v35, v19
	v_sub_f32_e32 v20, v36, v51
	v_fma_f32 v25, v25, 2.0, -v9
	v_fma_f32 v26, v26, 2.0, -v10
	;; [unrolled: 1-line block ×12, first 2 shown]
	ds_store_2addr_b64 v101, v[25:26], v[9:10] offset1:2
	ds_store_2addr_b64 v102, v[27:28], v[11:12] offset1:2
	;; [unrolled: 1-line block ×7, first 2 shown]
	global_wb scope:SCOPE_SE
	s_wait_dscnt 0x0
	s_barrier_signal -1
	s_barrier_wait -1
	global_inv scope:SCOPE_SE
	global_load_b64 v[91:92], v37, s[10:11] offset:16
	v_and_or_b32 v7, 0x78, v0, v23
	v_and_or_b32 v15, 0xf8, v3, v23
	;; [unrolled: 1-line block ×5, first 2 shown]
	ds_load_2addr_b64 v[11:14], v99 offset0:192 offset1:248
	v_lshlrev_b32_e32 v109, 3, v15
	ds_load_2addr_b64 v[15:18], v97 offset0:48 offset1:104
	v_lshlrev_b32_e32 v108, 3, v7
	;; [unrolled: 2-line block ×3, first 2 shown]
	v_lshlrev_b32_e32 v111, 3, v20
	v_lshlrev_b32_e32 v112, 3, v21
	ds_load_2addr_b64 v[19:22], v97 offset0:160 offset1:216
	v_and_or_b32 v25, 0x2f8, v1, v23
	v_and_or_b32 v23, 0x3f8, v2, v23
	v_and_b32_e32 v37, 7, v100
	s_delay_alu instid0(VALU_DEP_3)
	v_lshlrev_b32_e32 v113, 3, v25
	ds_load_2addr_b64 v[25:28], v96 offset1:56
	ds_load_2addr_b64 v[29:32], v96 offset0:112 offset1:168
	ds_load_2addr_b64 v[33:36], v98 offset0:96 offset1:152
	v_lshlrev_b32_e32 v114, 3, v23
	v_lshlrev_b32_e32 v38, 3, v37
	global_wb scope:SCOPE_SE
	s_wait_loadcnt_dscnt 0x0
	s_barrier_signal -1
	s_barrier_wait -1
	global_inv scope:SCOPE_SE
	v_and_or_b32 v0, 0x70, v0, v37
	v_and_or_b32 v1, 0x2f0, v1, v37
	;; [unrolled: 1-line block ×3, first 2 shown]
	v_mul_f32_e32 v43, v13, v92
	v_mul_f32_e32 v23, v10, v92
	;; [unrolled: 1-line block ×6, first 2 shown]
	v_dual_mul_f32 v44, v16, v92 :: v_dual_fmac_f32 v43, v14, v91
	v_mul_f32_e32 v45, v15, v92
	v_mul_f32_e32 v46, v18, v92
	;; [unrolled: 1-line block ×7, first 2 shown]
	v_fma_f32 v9, v9, v91, -v23
	v_fmac_f32_e32 v39, v10, v91
	v_fmac_f32_e32 v51, v20, v91
	v_fma_f32 v11, v11, v91, -v40
	v_fmac_f32_e32 v41, v12, v91
	v_fma_f32 v13, v13, v91, -v42
	v_fma_f32 v15, v15, v91, -v44
	v_fmac_f32_e32 v45, v16, v91
	v_fma_f32 v17, v17, v91, -v46
	v_fmac_f32_e32 v47, v18, v91
	v_fma_f32 v19, v19, v91, -v50
	v_fma_f32 v21, v21, v91, -v52
	v_dual_fmac_f32 v53, v22, v91 :: v_dual_sub_f32 v12, v28, v41
	v_dual_sub_f32 v9, v25, v9 :: v_dual_sub_f32 v10, v26, v39
	v_dual_sub_f32 v11, v27, v11 :: v_dual_sub_f32 v16, v32, v45
	v_dual_sub_f32 v13, v29, v13 :: v_dual_sub_f32 v14, v30, v43
	s_delay_alu instid0(VALU_DEP_4)
	v_dual_sub_f32 v15, v31, v15 :: v_dual_sub_f32 v22, v8, v53
	v_dual_sub_f32 v17, v33, v17 :: v_dual_sub_f32 v18, v34, v47
	v_dual_sub_f32 v19, v35, v19 :: v_dual_and_b32 v40, 15, v100
	v_dual_sub_f32 v20, v36, v51 :: v_dual_sub_f32 v21, v7, v21
	v_fma_f32 v25, v25, 2.0, -v9
	v_fma_f32 v26, v26, 2.0, -v10
	;; [unrolled: 1-line block ×14, first 2 shown]
	ds_store_2addr_b64 v108, v[25:26], v[9:10] offset1:4
	ds_store_2addr_b64 v109, v[27:28], v[11:12] offset1:4
	ds_store_2addr_b64 v110, v[29:30], v[13:14] offset1:4
	ds_store_2addr_b64 v111, v[31:32], v[15:16] offset1:4
	ds_store_2addr_b64 v112, v[33:34], v[17:18] offset1:4
	ds_store_2addr_b64 v113, v[35:36], v[19:20] offset1:4
	ds_store_2addr_b64 v114, v[7:8], v[21:22] offset1:4
	global_wb scope:SCOPE_SE
	s_wait_dscnt 0x0
	s_barrier_signal -1
	s_barrier_wait -1
	global_inv scope:SCOPE_SE
	global_load_b64 v[93:94], v38, s[10:11] offset:48
	v_and_or_b32 v15, 0x1f0, v4, v37
	v_and_or_b32 v16, 0x1f0, v5, v37
	ds_load_2addr_b64 v[7:10], v99 offset0:80 offset1:136
	v_lshlrev_b32_e32 v115, 3, v0
	v_and_or_b32 v0, 0xf0, v3, v37
	v_and_or_b32 v17, 0x3f0, v6, v37
	ds_load_2addr_b64 v[3:6], v99 offset0:192 offset1:248
	ds_load_2addr_b64 v[11:14], v97 offset0:48 offset1:104
	v_lshlrev_b32_e32 v117, 3, v15
	v_lshlrev_b32_e32 v118, 3, v16
	;; [unrolled: 1-line block ×3, first 2 shown]
	ds_load_2addr_b64 v[15:18], v97 offset0:160 offset1:216
	ds_load_2addr_b64 v[19:22], v96 offset1:56
	ds_load_2addr_b64 v[25:28], v96 offset0:112 offset1:168
	ds_load_2addr_b64 v[29:32], v98 offset0:96 offset1:152
	v_lshlrev_b32_e32 v116, 3, v0
	v_and_b32_e32 v44, 15, v24
	v_lshlrev_b32_e32 v120, 3, v1
	v_mad_co_u64_u32 v[33:34], null, v40, 48, s[10:11]
	global_wb scope:SCOPE_SE
	s_wait_loadcnt_dscnt 0x0
	s_barrier_signal -1
	s_barrier_wait -1
	global_inv scope:SCOPE_SE
	v_mul_f32_e32 v37, v12, v94
	v_mul_f32_e32 v23, v3, v94
	;; [unrolled: 1-line block ×5, first 2 shown]
	v_lshlrev_b32_e32 v121, 3, v2
	v_mul_f32_e32 v2, v4, v94
	s_delay_alu instid0(VALU_DEP_4)
	v_dual_mul_f32 v38, v11, v94 :: v_dual_fmac_f32 v1, v10, v93
	v_dual_mul_f32 v46, v17, v94 :: v_dual_fmac_f32 v23, v4, v93
	v_mul_f32_e32 v41, v13, v94
	v_fma_f32 v4, v5, v93, -v35
	v_mul_f32_e32 v43, v15, v94
	v_mul_f32_e32 v0, v10, v94
	v_dual_mul_f32 v39, v14, v94 :: v_dual_fmac_f32 v38, v12, v93
	v_fma_f32 v2, v3, v93, -v2
	v_fmac_f32_e32 v36, v6, v93
	v_fma_f32 v6, v11, v93, -v37
	v_fmac_f32_e32 v46, v18, v93
	v_dual_mul_f32 v42, v16, v94 :: v_dual_fmac_f32 v41, v14, v93
	v_dual_sub_f32 v4, v25, v4 :: v_dual_fmac_f32 v43, v16, v93
	v_sub_f32_e32 v2, v21, v2
	v_fma_f32 v0, v9, v93, -v0
	v_sub_f32_e32 v1, v20, v1
	v_dual_sub_f32 v3, v22, v23 :: v_dual_sub_f32 v10, v28, v38
	v_dual_sub_f32 v5, v26, v36 :: v_dual_sub_f32 v14, v32, v43
	;; [unrolled: 1-line block ×3, first 2 shown]
	v_dual_mul_f32 v45, v18, v94 :: v_dual_sub_f32 v0, v19, v0
	v_fma_f32 v18, v20, 2.0, -v1
	v_fma_f32 v20, v22, 2.0, -v3
	;; [unrolled: 1-line block ×6, first 2 shown]
	v_lshrrev_b32_e32 v32, 4, v24
	v_fma_f32 v11, v13, v93, -v39
	v_fma_f32 v13, v15, v93, -v42
	;; [unrolled: 1-line block ×3, first 2 shown]
	v_sub_f32_e32 v16, v8, v46
	v_mul_u32_u24_e32 v45, 0x70, v32
	v_sub_f32_e32 v11, v29, v11
	v_sub_f32_e32 v13, v31, v13
	;; [unrolled: 1-line block ×3, first 2 shown]
	v_fma_f32 v17, v19, 2.0, -v0
	v_or_b32_e32 v51, v45, v44
	v_fma_f32 v19, v21, 2.0, -v2
	v_fma_f32 v21, v25, 2.0, -v4
	;; [unrolled: 1-line block ×7, first 2 shown]
	v_lshlrev_b32_e32 v122, 3, v51
	ds_store_2addr_b64 v115, v[17:18], v[0:1] offset1:8
	ds_store_2addr_b64 v116, v[19:20], v[2:3] offset1:8
	;; [unrolled: 1-line block ×7, first 2 shown]
	v_mad_co_u64_u32 v[0:1], null, v44, 48, s[10:11]
	global_wb scope:SCOPE_SE
	s_wait_dscnt 0x0
	s_barrier_signal -1
	s_barrier_wait -1
	global_inv scope:SCOPE_SE
	s_clause 0x5
	global_load_b128 v[20:23], v[33:34], off offset:112
	global_load_b128 v[16:19], v[33:34], off offset:128
	;; [unrolled: 1-line block ×6, first 2 shown]
	v_lshrrev_b32_e32 v28, 4, v100
	ds_load_2addr_b64 v[24:27], v96 offset0:112 offset1:168
	v_mul_u32_u24_e32 v41, 0x70, v28
	ds_load_2addr_b64 v[28:31], v98 offset0:96 offset1:152
	ds_load_2addr_b64 v[32:35], v99 offset0:80 offset1:136
	;; [unrolled: 1-line block ×4, first 2 shown]
	v_or_b32_e32 v50, v41, v40
	ds_load_2addr_b64 v[40:43], v97 offset0:48 offset1:104
	v_lshlrev_b32_e32 v123, 3, v50
	ds_load_2addr_b64 v[50:53], v96 offset1:56
	global_wb scope:SCOPE_SE
	s_wait_loadcnt_dscnt 0x0
	s_barrier_signal -1
	s_barrier_wait -1
	global_inv scope:SCOPE_SE
	v_mul_f32_e32 v124, v33, v17
	v_dual_mul_f32 v125, v32, v17 :: v_dual_mul_f32 v132, v45, v15
	v_mul_f32_e32 v56, v25, v21
	v_dual_mul_f32 v57, v24, v21 :: v_dual_mul_f32 v126, v37, v19
	v_dual_mul_f32 v58, v29, v23 :: v_dual_mul_f32 v129, v27, v9
	v_mul_f32_e32 v134, v30, v11
	v_dual_mul_f32 v59, v28, v23 :: v_dual_mul_f32 v128, v41, v13
	v_dual_mul_f32 v127, v36, v19 :: v_dual_mul_f32 v130, v26, v9
	;; [unrolled: 1-line block ×4, first 2 shown]
	v_fma_f32 v24, v24, v20, -v56
	v_fmac_f32_e32 v57, v25, v20
	v_fma_f32 v25, v26, v8, -v129
	v_fma_f32 v26, v28, v22, -v58
	;; [unrolled: 1-line block ×4, first 2 shown]
	v_mul_f32_e32 v133, v31, v11
	v_dual_mul_f32 v137, v34, v5 :: v_dual_mul_f32 v142, v47, v3
	v_dual_mul_f32 v139, v38, v7 :: v_dual_mul_f32 v140, v43, v1
	v_dual_mul_f32 v141, v42, v1 :: v_dual_fmac_f32 v130, v27, v8
	v_dual_mul_f32 v143, v46, v3 :: v_dual_fmac_f32 v134, v31, v10
	v_fmac_f32_e32 v59, v29, v22
	v_fma_f32 v27, v30, v10, -v133
	v_fma_f32 v29, v34, v4, -v136
	;; [unrolled: 1-line block ×3, first 2 shown]
	v_fmac_f32_e32 v127, v37, v18
	v_fma_f32 v31, v40, v12, -v128
	v_fmac_f32_e32 v125, v33, v16
	v_fma_f32 v33, v38, v6, -v138
	v_dual_fmac_f32 v131, v41, v12 :: v_dual_add_f32 v40, v28, v30
	v_fma_f32 v34, v42, v0, -v140
	v_fmac_f32_e32 v141, v43, v0
	v_add_f32_e32 v36, v24, v32
	v_add_f32_e32 v38, v26, v31
	v_dual_sub_f32 v26, v26, v31 :: v_dual_fmac_f32 v135, v45, v14
	v_sub_f32_e32 v28, v30, v28
	v_sub_f32_e32 v30, v127, v125
	v_fmac_f32_e32 v137, v35, v4
	v_fma_f32 v35, v46, v2, -v142
	v_dual_add_f32 v46, v29, v33 :: v_dual_fmac_f32 v143, v47, v2
	v_fmac_f32_e32 v139, v39, v6
	v_dual_add_f32 v37, v57, v135 :: v_dual_add_f32 v44, v27, v34
	v_sub_f32_e32 v24, v24, v32
	v_sub_f32_e32 v32, v57, v135
	v_dual_add_f32 v39, v59, v131 :: v_dual_add_f32 v56, v38, v36
	v_dual_sub_f32 v31, v59, v131 :: v_dual_sub_f32 v58, v38, v36
	v_dual_add_f32 v41, v125, v127 :: v_dual_sub_f32 v36, v36, v40
	v_dual_add_f32 v42, v25, v35 :: v_dual_add_f32 v45, v134, v141
	v_dual_sub_f32 v27, v27, v34 :: v_dual_sub_f32 v128, v26, v24
	v_sub_f32_e32 v34, v134, v141
	v_dual_add_f32 v43, v130, v143 :: v_dual_sub_f32 v38, v40, v38
	v_sub_f32_e32 v29, v33, v29
	v_dual_sub_f32 v25, v25, v35 :: v_dual_add_f32 v124, v28, v26
	v_dual_sub_f32 v35, v130, v143 :: v_dual_sub_f32 v126, v28, v26
	v_add_f32_e32 v47, v137, v139
	v_dual_sub_f32 v33, v139, v137 :: v_dual_sub_f32 v130, v44, v42
	v_add_f32_e32 v57, v39, v37
	v_dual_add_f32 v125, v30, v31 :: v_dual_add_f32 v40, v40, v56
	v_dual_sub_f32 v127, v30, v31 :: v_dual_add_f32 v56, v124, v24
	v_sub_f32_e32 v28, v24, v28
	v_dual_add_f32 v26, v44, v42 :: v_dual_sub_f32 v31, v31, v32
	v_add_f32_e32 v132, v29, v27
	v_dual_sub_f32 v131, v45, v43 :: v_dual_mul_f32 v36, 0x3f4a47b2, v36
	v_dual_sub_f32 v59, v39, v37 :: v_dual_sub_f32 v44, v46, v44
	v_sub_f32_e32 v37, v37, v41
	v_dual_sub_f32 v39, v41, v39 :: v_dual_sub_f32 v136, v27, v25
	v_dual_sub_f32 v30, v32, v30 :: v_dual_add_f32 v129, v45, v43
	v_sub_f32_e32 v42, v42, v46
	v_dual_add_f32 v46, v46, v26 :: v_dual_sub_f32 v43, v43, v47
	v_dual_add_f32 v32, v125, v32 :: v_dual_sub_f32 v45, v47, v45
	v_sub_f32_e32 v134, v29, v27
	v_dual_add_f32 v133, v33, v34 :: v_dual_mul_f32 v124, 0x3d64c772, v39
	v_sub_f32_e32 v135, v33, v34
	v_sub_f32_e32 v29, v25, v29
	s_delay_alu instid0(VALU_DEP_4)
	v_dual_add_f32 v41, v41, v57 :: v_dual_mul_f32 v134, 0xbf08b237, v134
	v_dual_mul_f32 v57, 0x3d64c772, v38 :: v_dual_fmamk_f32 v38, v38, 0x3d64c772, v36
	v_dual_mul_f32 v125, 0xbf08b237, v126 :: v_dual_mul_f32 v126, 0xbf08b237, v127
	v_dual_add_f32 v127, v132, v25 :: v_dual_mul_f32 v132, 0xbf5ff5aa, v31
	v_dual_sub_f32 v33, v35, v33 :: v_dual_mul_f32 v42, 0x3f4a47b2, v42
	v_dual_sub_f32 v34, v34, v35 :: v_dual_add_f32 v47, v47, v129
	v_mul_f32_e32 v138, 0xbf5ff5aa, v136
	v_dual_mul_f32 v37, 0x3f4a47b2, v37 :: v_dual_add_f32 v24, v50, v40
	v_dual_mul_f32 v129, 0xbf5ff5aa, v128 :: v_dual_add_f32 v26, v52, v46
	v_dual_add_f32 v35, v133, v35 :: v_dual_fmac_f32 v132, 0xbeae86e6, v30
	v_fma_f32 v50, 0x3f3bfb3b, v58, -v57
	v_fma_f32 v36, 0xbf3bfb3b, v58, -v36
	;; [unrolled: 1-line block ×3, first 2 shown]
	v_fmamk_f32 v58, v30, 0x3eae86e6, v126
	v_mul_f32_e32 v133, 0x3d64c772, v44
	v_add_f32_e32 v25, v51, v41
	v_dual_add_f32 v27, v53, v47 :: v_dual_fmac_f32 v138, 0xbeae86e6, v29
	v_fma_f32 v51, 0x3f3bfb3b, v59, -v124
	v_fmac_f32_e32 v58, 0x3ee1c552, v32
	v_fmac_f32_e32 v57, 0x3ee1c552, v32
	;; [unrolled: 1-line block ×3, first 2 shown]
	v_fmamk_f32 v32, v46, 0xbf955555, v26
	v_fmamk_f32 v39, v39, 0x3d64c772, v37
	v_fma_f32 v37, 0xbf3bfb3b, v59, -v37
	v_fmamk_f32 v59, v29, 0x3eae86e6, v134
	v_fmamk_f32 v29, v40, 0xbf955555, v24
	v_mul_f32_e32 v135, 0xbf08b237, v135
	v_fmac_f32_e32 v138, 0x3ee1c552, v127
	s_delay_alu instid0(VALU_DEP_3) | instskip(NEXT) | instid1(VALU_DEP_3)
	v_dual_fmac_f32 v59, 0x3ee1c552, v127 :: v_dual_add_f32 v36, v36, v29
	v_fma_f32 v126, 0x3f5ff5aa, v34, -v135
	v_add_f32_e32 v38, v38, v29
	v_fma_f32 v52, 0x3f5ff5aa, v128, -v125
	v_fmamk_f32 v53, v28, 0x3eae86e6, v125
	v_fmac_f32_e32 v129, 0xbeae86e6, v28
	v_fmamk_f32 v28, v44, 0x3d64c772, v42
	v_mul_f32_e32 v139, 0xbf5ff5aa, v34
	v_fma_f32 v31, 0x3f3bfb3b, v130, -v133
	v_fmamk_f32 v124, v33, 0x3eae86e6, v135
	v_fma_f32 v125, 0x3f5ff5aa, v136, -v134
	v_fmac_f32_e32 v52, 0x3ee1c552, v56
	v_dual_fmac_f32 v129, 0x3ee1c552, v56 :: v_dual_fmac_f32 v126, 0x3ee1c552, v35
	v_add_f32_e32 v46, v31, v32
	v_dual_fmac_f32 v53, 0x3ee1c552, v56 :: v_dual_fmac_f32 v124, 0x3ee1c552, v35
	v_dual_add_f32 v56, v28, v32 :: v_dual_fmac_f32 v139, 0xbeae86e6, v33
	v_fma_f32 v42, 0xbf3bfb3b, v130, -v42
	v_fmamk_f32 v34, v47, 0xbf955555, v27
	v_dual_fmac_f32 v125, 0x3ee1c552, v127 :: v_dual_add_f32 v28, v58, v38
	s_delay_alu instid0(VALU_DEP_4) | instskip(SKIP_3) | instid1(VALU_DEP_3)
	v_fmac_f32_e32 v139, 0x3ee1c552, v35
	v_add_f32_e32 v35, v50, v29
	v_dual_fmamk_f32 v33, v41, 0xbf955555, v25 :: v_dual_add_f32 v50, v42, v32
	v_sub_f32_e32 v38, v38, v58
	v_dual_sub_f32 v32, v35, v57 :: v_dual_mul_f32 v43, 0x3f4a47b2, v43
	s_delay_alu instid0(VALU_DEP_3)
	v_add_f32_e32 v40, v51, v33
	v_mul_f32_e32 v137, 0x3d64c772, v45
	v_add_f32_e32 v39, v39, v33
	v_add_f32_e32 v37, v37, v33
	v_fmamk_f32 v30, v45, 0x3d64c772, v43
	v_fma_f32 v43, 0xbf3bfb3b, v131, -v43
	v_fma_f32 v44, 0x3f3bfb3b, v131, -v137
	v_sub_f32_e32 v29, v39, v53
	v_dual_sub_f32 v31, v37, v129 :: v_dual_add_f32 v42, v139, v50
	v_add_f32_e32 v127, v30, v34
	s_delay_alu instid0(VALU_DEP_4)
	v_dual_add_f32 v47, v44, v34 :: v_dual_sub_f32 v50, v50, v139
	v_dual_add_f32 v51, v43, v34 :: v_dual_add_f32 v30, v132, v36
	v_add_f32_e32 v33, v52, v40
	v_sub_f32_e32 v36, v36, v132
	v_dual_add_f32 v34, v57, v35 :: v_dual_sub_f32 v35, v40, v52
	v_add_f32_e32 v37, v129, v37
	v_dual_add_f32 v39, v53, v39 :: v_dual_add_f32 v40, v124, v56
	v_dual_sub_f32 v41, v127, v59 :: v_dual_sub_f32 v44, v46, v126
	v_dual_add_f32 v45, v125, v47 :: v_dual_add_f32 v46, v126, v46
	v_dual_sub_f32 v47, v47, v125 :: v_dual_sub_f32 v52, v56, v124
	v_sub_f32_e32 v43, v51, v138
	v_add_f32_e32 v51, v138, v51
	v_add_f32_e32 v53, v59, v127
	ds_store_2addr_b64 v123, v[24:25], v[28:29] offset1:16
	ds_store_2addr_b64 v123, v[30:31], v[32:33] offset0:32 offset1:48
	ds_store_2addr_b64 v123, v[34:35], v[36:37] offset0:64 offset1:80
	ds_store_b64 v123, v[38:39] offset:768
	ds_store_2addr_b64 v122, v[26:27], v[40:41] offset1:16
	ds_store_2addr_b64 v122, v[42:43], v[44:45] offset0:32 offset1:48
	ds_store_2addr_b64 v122, v[46:47], v[50:51] offset0:64 offset1:80
	ds_store_b64 v122, v[52:53] offset:768
	global_wb scope:SCOPE_SE
	s_wait_dscnt 0x0
	s_barrier_signal -1
	s_barrier_wait -1
	global_inv scope:SCOPE_SE
	s_clause 0x5
	global_load_b128 v[24:27], v[54:55], off offset:880
	global_load_b128 v[32:35], v[54:55], off offset:3568
	;; [unrolled: 1-line block ×6, first 2 shown]
	ds_load_2addr_b64 v[50:53], v96 offset0:112 offset1:168
	ds_load_2addr_b64 v[54:57], v98 offset0:96 offset1:152
	;; [unrolled: 1-line block ×6, first 2 shown]
	ds_load_2addr_b64 v[140:143], v96 offset1:56
	s_wait_loadcnt_dscnt 0x506
	v_mul_f32_e32 v58, v51, v25
	v_mul_f32_e32 v59, v50, v25
	s_wait_loadcnt 0x4
	v_mul_f32_e32 v144, v53, v33
	s_wait_loadcnt_dscnt 0x203
	v_dual_mul_f32 v156, v131, v31 :: v_dual_mul_f32 v145, v52, v33
	s_wait_loadcnt_dscnt 0x101
	v_mul_f32_e32 v162, v137, v39
	v_dual_mul_f32 v146, v55, v27 :: v_dual_mul_f32 v151, v124, v41
	v_mul_f32_e32 v153, v126, v29
	v_fma_f32 v50, v50, v24, -v58
	s_wait_loadcnt 0x0
	v_mul_f32_e32 v58, v138, v47
	v_dual_mul_f32 v147, v54, v27 :: v_dual_mul_f32 v160, v135, v45
	v_mul_f32_e32 v148, v57, v35
	v_mul_f32_e32 v150, v125, v41
	;; [unrolled: 1-line block ×5, first 2 shown]
	v_fma_f32 v54, v54, v26, -v146
	v_dual_fmac_f32 v145, v53, v32 :: v_dual_fmac_f32 v58, v139, v46
	v_fmac_f32_e32 v59, v51, v24
	v_fma_f32 v51, v52, v32, -v144
	v_mul_f32_e32 v52, v136, v39
	v_mul_f32_e32 v149, v56, v35
	v_fmac_f32_e32 v153, v127, v28
	v_mul_f32_e32 v53, v139, v47
	v_fmac_f32_e32 v147, v55, v26
	v_fma_f32 v55, v56, v34, -v148
	v_fma_f32 v56, v124, v40, -v150
	v_fma_f32 v124, v128, v42, -v154
	v_fmac_f32_e32 v52, v137, v38
	v_fma_f32 v53, v138, v46, -v53
	v_add_f32_e32 v138, v145, v58
	v_fmac_f32_e32 v149, v57, v34
	v_fma_f32 v57, v126, v28, -v152
	v_fma_f32 v126, v132, v36, -v158
	v_mul_f32_e32 v155, v128, v43
	v_fma_f32 v128, v136, v38, -v162
	v_mul_f32_e32 v157, v130, v31
	v_fmac_f32_e32 v151, v125, v40
	v_fma_f32 v125, v130, v30, -v156
	v_add_f32_e32 v130, v54, v126
	v_fmac_f32_e32 v155, v129, v42
	v_add_f32_e32 v129, v50, v128
	v_fma_f32 v127, v134, v44, -v160
	v_mul_f32_e32 v161, v134, v45
	v_sub_f32_e32 v54, v54, v126
	v_sub_f32_e32 v50, v50, v128
	v_add_f32_e32 v126, v130, v129
	v_dual_add_f32 v136, v55, v127 :: v_dual_mul_f32 v159, v132, v37
	v_dual_fmac_f32 v161, v135, v44 :: v_dual_sub_f32 v146, v130, v129
	v_add_f32_e32 v132, v59, v52
	v_add_f32_e32 v135, v51, v53
	v_fmac_f32_e32 v157, v131, v30
	v_add_f32_e32 v131, v56, v124
	v_sub_f32_e32 v56, v124, v56
	v_dual_add_f32 v134, v151, v155 :: v_dual_fmac_f32 v159, v133, v36
	v_sub_f32_e32 v124, v155, v151
	v_dual_sub_f32 v52, v59, v52 :: v_dual_add_f32 v139, v149, v161
	v_add_f32_e32 v137, v57, v125
	s_delay_alu instid0(VALU_DEP_4) | instskip(SKIP_2) | instid1(VALU_DEP_3)
	v_sub_f32_e32 v59, v147, v159
	v_dual_add_f32 v133, v147, v159 :: v_dual_add_f32 v148, v56, v54
	v_sub_f32_e32 v55, v55, v127
	v_dual_add_f32 v150, v124, v59 :: v_dual_sub_f32 v51, v51, v53
	v_dual_sub_f32 v152, v136, v135 :: v_dual_sub_f32 v53, v145, v58
	v_sub_f32_e32 v58, v149, v161
	v_add_f32_e32 v128, v136, v135
	v_dual_add_f32 v144, v153, v157 :: v_dual_sub_f32 v149, v56, v54
	v_dual_sub_f32 v147, v133, v132 :: v_dual_sub_f32 v54, v54, v50
	v_dual_sub_f32 v57, v125, v57 :: v_dual_add_f32 v126, v131, v126
	v_dual_sub_f32 v125, v157, v153 :: v_dual_sub_f32 v130, v131, v130
	v_dual_sub_f32 v56, v50, v56 :: v_dual_add_f32 v145, v139, v138
	v_dual_sub_f32 v153, v139, v138 :: v_dual_sub_f32 v138, v138, v144
	v_dual_add_f32 v127, v133, v132 :: v_dual_sub_f32 v132, v132, v134
	v_sub_f32_e32 v129, v129, v131
	v_dual_sub_f32 v133, v134, v133 :: v_dual_sub_f32 v136, v137, v136
	v_sub_f32_e32 v139, v144, v139
	v_add_f32_e32 v154, v57, v55
	v_add_f32_e32 v128, v137, v128
	v_mul_f32_e32 v132, 0x3f4a47b2, v132
	v_mul_f32_e32 v158, 0x3d64c772, v136
	;; [unrolled: 1-line block ×3, first 2 shown]
	v_add_f32_e32 v131, v144, v145
	v_dual_mul_f32 v144, 0xbf08b237, v149 :: v_dual_add_f32 v127, v134, v127
	v_add_f32_e32 v134, v148, v50
	v_add_f32_e32 v156, v125, v58
	v_sub_f32_e32 v155, v57, v55
	v_dual_sub_f32 v55, v55, v51 :: v_dual_mul_f32 v138, 0x3f4a47b2, v138
	v_dual_sub_f32 v151, v124, v59 :: v_dual_mul_f32 v148, 0x3d64c772, v130
	v_sub_f32_e32 v124, v52, v124
	v_sub_f32_e32 v59, v59, v52
	s_delay_alu instid0(VALU_DEP_4)
	v_dual_sub_f32 v157, v125, v58 :: v_dual_mul_f32 v160, 0xbf5ff5aa, v55
	s_wait_dscnt 0x0
	v_dual_sub_f32 v135, v135, v137 :: v_dual_add_f32 v50, v140, v126
	v_sub_f32_e32 v57, v51, v57
	v_dual_add_f32 v137, v150, v52 :: v_dual_mul_f32 v150, 0xbf5ff5aa, v54
	v_add_f32_e32 v154, v154, v51
	v_add_f32_e32 v52, v142, v128
	v_fma_f32 v142, 0x3f5ff5aa, v54, -v144
	v_dual_fmamk_f32 v144, v56, 0x3eae86e6, v144 :: v_dual_add_f32 v51, v141, v127
	v_fmac_f32_e32 v160, 0xbeae86e6, v57
	v_sub_f32_e32 v58, v58, v53
	v_dual_sub_f32 v125, v53, v125 :: v_dual_fmac_f32 v150, 0xbeae86e6, v56
	v_add_f32_e32 v156, v156, v53
	v_fma_f32 v140, 0x3f3bfb3b, v146, -v148
	v_dual_fmamk_f32 v56, v130, 0x3d64c772, v129 :: v_dual_add_f32 v53, v143, v131
	v_dual_fmamk_f32 v126, v126, 0xbf955555, v50 :: v_dual_fmamk_f32 v127, v127, 0xbf955555, v51
	v_mul_f32_e32 v145, 0xbf08b237, v151
	v_mul_f32_e32 v151, 0xbf5ff5aa, v59
	v_fmac_f32_e32 v142, 0x3ee1c552, v134
	v_fmac_f32_e32 v144, 0x3ee1c552, v134
	v_dual_fmamk_f32 v128, v128, 0xbf955555, v52 :: v_dual_fmamk_f32 v131, v131, 0xbf955555, v53
	v_mul_f32_e32 v157, 0xbf08b237, v157
	v_fmac_f32_e32 v151, 0xbeae86e6, v124
	v_fmac_f32_e32 v150, 0x3ee1c552, v134
	v_add_f32_e32 v134, v140, v126
	v_fma_f32 v59, 0x3f5ff5aa, v59, -v145
	v_fma_f32 v143, 0xbf3bfb3b, v147, -v132
	v_fmamk_f32 v145, v124, 0x3eae86e6, v145
	v_fmamk_f32 v124, v133, 0x3d64c772, v132
	v_fma_f32 v132, 0x3f5ff5aa, v58, -v157
	v_fmac_f32_e32 v59, 0x3ee1c552, v137
	v_mul_f32_e32 v161, 0xbf5ff5aa, v58
	v_fma_f32 v58, 0xbf3bfb3b, v153, -v138
	v_fmac_f32_e32 v151, 0x3ee1c552, v137
	v_mul_f32_e32 v135, 0x3f4a47b2, v135
	v_mul_f32_e32 v159, 0x3d64c772, v139
	s_delay_alu instid0(VALU_DEP_4)
	v_dual_fmac_f32 v145, 0x3ee1c552, v137 :: v_dual_add_f32 v148, v58, v131
	v_fma_f32 v54, 0xbf3bfb3b, v146, -v129
	v_fma_f32 v129, 0x3f3bfb3b, v152, -v158
	v_mul_f32_e32 v155, 0xbf08b237, v155
	v_mul_f32_e32 v149, 0x3d64c772, v133
	v_dual_fmac_f32 v132, 0x3ee1c552, v156 :: v_dual_add_f32 v137, v143, v127
	s_delay_alu instid0(VALU_DEP_4) | instskip(NEXT) | instid1(VALU_DEP_4)
	v_add_f32_e32 v140, v129, v128
	v_fmamk_f32 v146, v57, 0x3eae86e6, v155
	v_dual_fmamk_f32 v57, v136, 0x3d64c772, v135 :: v_dual_add_f32 v136, v54, v126
	v_fma_f32 v133, 0x3f5ff5aa, v55, -v155
	v_dual_sub_f32 v54, v134, v59 :: v_dual_fmac_f32 v161, 0xbeae86e6, v125
	v_fma_f32 v141, 0x3f3bfb3b, v147, -v149
	s_delay_alu instid0(VALU_DEP_4)
	v_add_f32_e32 v58, v151, v136
	v_fma_f32 v55, 0xbf3bfb3b, v152, -v135
	v_fmamk_f32 v147, v125, 0x3eae86e6, v157
	v_fmamk_f32 v125, v139, 0x3d64c772, v138
	v_fmac_f32_e32 v133, 0x3ee1c552, v154
	v_add_f32_e32 v138, v56, v126
	v_add_f32_e32 v139, v124, v127
	v_dual_add_f32 v143, v55, v128 :: v_dual_sub_f32 v124, v136, v151
	v_dual_fmac_f32 v160, 0x3ee1c552, v154 :: v_dual_fmac_f32 v161, 0x3ee1c552, v156
	v_add_f32_e32 v56, v59, v134
	v_fma_f32 v130, 0x3f3bfb3b, v153, -v159
	v_add_f32_e32 v135, v141, v127
	v_add_f32_e32 v126, v145, v138
	v_dual_sub_f32 v136, v143, v161 :: v_dual_add_f32 v149, v57, v128
	v_sub_f32_e32 v128, v138, v145
	v_dual_fmac_f32 v146, 0x3ee1c552, v154 :: v_dual_fmac_f32 v147, 0x3ee1c552, v156
	v_dual_add_f32 v141, v130, v131 :: v_dual_sub_f32 v130, v140, v132
	v_add_f32_e32 v152, v125, v131
	s_delay_alu instid0(VALU_DEP_3)
	v_dual_sub_f32 v59, v137, v150 :: v_dual_add_f32 v138, v147, v149
	v_sub_f32_e32 v127, v139, v144
	v_dual_add_f32 v132, v132, v140 :: v_dual_add_f32 v55, v142, v135
	v_sub_f32_e32 v57, v135, v142
	v_add_f32_e32 v125, v150, v137
	v_add_f32_e32 v129, v144, v139
	v_add_f32_e32 v131, v133, v141
	v_sub_f32_e32 v133, v141, v133
	v_sub_f32_e32 v135, v148, v160
	v_add_f32_e32 v137, v160, v148
	v_dual_sub_f32 v139, v152, v146 :: v_dual_sub_f32 v140, v149, v147
	v_dual_add_f32 v134, v161, v143 :: v_dual_add_f32 v141, v146, v152
	ds_store_b64 v96, v[126:127] offset:896
	ds_store_b64 v96, v[58:59] offset:1792
	;; [unrolled: 1-line block ×6, first 2 shown]
	ds_store_2addr_b64 v96, v[50:51], v[52:53] offset1:56
	ds_store_b64 v96, v[138:139] offset:1344
	ds_store_b64 v96, v[134:135] offset:2240
	;; [unrolled: 1-line block ×6, first 2 shown]
	global_wb scope:SCOPE_SE
	s_wait_dscnt 0x0
	s_barrier_signal -1
	s_barrier_wait -1
	global_inv scope:SCOPE_SE
	global_load_b64 v[54:55], v96, s[8:9] offset:6272
	s_add_nc_u64 s[8:9], s[8:9], 0x1880
	s_clause 0xc
	global_load_b64 v[58:59], v96, s[8:9] offset:448
	global_load_b64 v[132:133], v96, s[8:9] offset:3584
	;; [unrolled: 1-line block ×13, first 2 shown]
	ds_load_2addr_b64 v[50:53], v96 offset1:56
	s_wait_loadcnt_dscnt 0xc00
	v_mul_f32_e32 v157, v52, v59
	s_delay_alu instid0(VALU_DEP_1) | instskip(SKIP_2) | instid1(VALU_DEP_2)
	v_fmac_f32_e32 v157, v53, v58
	v_mul_f32_e32 v57, v51, v55
	v_mul_f32_e32 v56, v50, v55
	v_fma_f32 v55, v50, v54, -v57
	s_delay_alu instid0(VALU_DEP_2)
	v_fmac_f32_e32 v56, v51, v54
	v_mul_f32_e32 v50, v53, v59
	ds_store_b64 v96, v[55:56]
	ds_load_2addr_b64 v[54:57], v99 offset0:192 offset1:248
	ds_load_2addr_b64 v[124:127], v96 offset0:112 offset1:168
	;; [unrolled: 1-line block ×3, first 2 shown]
	v_fma_f32 v156, v52, v58, -v50
	ds_load_2addr_b64 v[50:53], v98 offset0:96 offset1:152
	s_wait_loadcnt_dscnt 0xb03
	v_mul_f32_e32 v58, v55, v133
	v_mul_f32_e32 v59, v54, v133
	s_wait_loadcnt 0xa
	v_mul_f32_e32 v133, v57, v135
	v_mul_f32_e32 v159, v56, v135
	s_wait_loadcnt_dscnt 0x902
	v_mul_f32_e32 v135, v125, v137
	v_fma_f32 v58, v54, v132, -v58
	v_fmac_f32_e32 v59, v55, v132
	v_fma_f32 v158, v56, v134, -v133
	v_fmac_f32_e32 v159, v57, v134
	ds_load_2addr_b64 v[54:57], v99 offset0:80 offset1:136
	v_fma_f32 v160, v124, v136, -v135
	ds_load_2addr_b64 v[132:135], v97 offset0:160 offset1:216
	v_mul_f32_e32 v161, v124, v137
	s_wait_loadcnt 0x8
	v_mul_f32_e32 v137, v126, v139
	v_mul_f32_e32 v162, v127, v139
	s_wait_loadcnt_dscnt 0x703
	v_mul_f32_e32 v124, v129, v141
	v_fmac_f32_e32 v161, v125, v136
	v_fmac_f32_e32 v137, v127, v138
	v_mul_f32_e32 v125, v128, v141
	s_wait_loadcnt 0x6
	v_mul_f32_e32 v127, v130, v143
	v_fma_f32 v136, v126, v138, -v162
	v_mul_f32_e32 v126, v131, v143
	v_fma_f32 v124, v128, v140, -v124
	v_fmac_f32_e32 v125, v129, v140
	s_wait_loadcnt_dscnt 0x502
	v_mul_f32_e32 v129, v50, v145
	v_fmac_f32_e32 v127, v131, v142
	s_wait_loadcnt 0x4
	v_dual_mul_f32 v131, v52, v147 :: v_dual_mul_f32 v128, v51, v145
	s_wait_loadcnt_dscnt 0x301
	v_mul_f32_e32 v138, v57, v149
	v_mul_f32_e32 v139, v56, v149
	v_fma_f32 v126, v130, v142, -v126
	v_mul_f32_e32 v130, v53, v147
	s_wait_loadcnt 0x2
	v_mul_f32_e32 v140, v55, v151
	v_fmac_f32_e32 v129, v51, v144
	s_wait_loadcnt_dscnt 0x100
	v_dual_mul_f32 v51, v54, v151 :: v_dual_mul_f32 v142, v133, v153
	v_fmac_f32_e32 v131, v53, v146
	v_mul_f32_e32 v53, v132, v153
	s_wait_loadcnt 0x0
	v_mul_f32_e32 v143, v135, v155
	v_dual_mul_f32 v141, v134, v155 :: v_dual_add_nc_u32 v162, 0xc00, v96
	v_fma_f32 v138, v56, v148, -v138
	v_fmac_f32_e32 v139, v57, v148
	v_fma_f32 v128, v50, v144, -v128
	v_fma_f32 v130, v52, v146, -v130
	;; [unrolled: 1-line block ×3, first 2 shown]
	v_fmac_f32_e32 v51, v55, v150
	v_fma_f32 v52, v132, v152, -v142
	v_fmac_f32_e32 v53, v133, v152
	v_fma_f32 v140, v134, v154, -v143
	v_fmac_f32_e32 v141, v135, v154
	ds_store_2addr_b64 v162, v[158:159], v[124:125] offset0:120 offset1:176
	ds_store_2addr_b64 v99, v[138:139], v[58:59] offset0:136 offset1:192
	;; [unrolled: 1-line block ×6, first 2 shown]
	ds_store_b64 v96, v[140:141] offset:5824
	global_wb scope:SCOPE_SE
	s_wait_dscnt 0x0
	s_barrier_signal -1
	s_barrier_wait -1
	global_inv scope:SCOPE_SE
	ds_load_2addr_b64 v[50:53], v96 offset1:56
	ds_load_2addr_b64 v[54:57], v99 offset0:80 offset1:136
	ds_load_2addr_b64 v[124:127], v99 offset0:192 offset1:248
	;; [unrolled: 1-line block ×6, first 2 shown]
	global_wb scope:SCOPE_SE
	s_wait_dscnt 0x0
	s_barrier_signal -1
	s_barrier_wait -1
	global_inv scope:SCOPE_SE
	v_dual_sub_f32 v58, v50, v56 :: v_dual_sub_f32 v59, v51, v57
	v_dual_sub_f32 v144, v52, v124 :: v_dual_sub_f32 v145, v53, v125
	;; [unrolled: 1-line block ×7, first 2 shown]
	v_fma_f32 v56, v50, 2.0, -v58
	v_fma_f32 v57, v51, 2.0, -v59
	;; [unrolled: 1-line block ×14, first 2 shown]
	ds_store_b128 v49, v[56:59]
	ds_store_b128 v49, v[142:145] offset:896
	ds_store_b128 v48, v[124:127] offset:1792
	;; [unrolled: 1-line block ×6, first 2 shown]
	global_wb scope:SCOPE_SE
	s_wait_dscnt 0x0
	s_barrier_signal -1
	s_barrier_wait -1
	global_inv scope:SCOPE_SE
	ds_load_2addr_b64 v[48:51], v99 offset0:192 offset1:248
	ds_load_2addr_b64 v[52:55], v97 offset0:48 offset1:104
	;; [unrolled: 1-line block ×4, first 2 shown]
	ds_load_2addr_b64 v[128:131], v96 offset1:56
	ds_load_2addr_b64 v[132:135], v96 offset0:112 offset1:168
	ds_load_2addr_b64 v[136:139], v98 offset0:96 offset1:152
	global_wb scope:SCOPE_SE
	s_wait_dscnt 0x0
	s_barrier_signal -1
	s_barrier_wait -1
	global_inv scope:SCOPE_SE
	v_mad_co_u64_u32 v[140:141], null, s6, v88, 0
	v_mad_co_u64_u32 v[142:143], null, s4, v100, 0
	v_mul_f32_e32 v144, v90, v49
	v_mul_f32_e32 v145, v90, v48
	;; [unrolled: 1-line block ×14, first 2 shown]
	v_fma_f32 v145, v89, v49, -v145
	v_fmac_f32_e32 v144, v89, v48
	v_fmac_f32_e32 v146, v89, v50
	;; [unrolled: 1-line block ×3, first 2 shown]
	v_fma_f32 v49, v89, v127, -v90
	v_fma_f32 v147, v89, v51, -v147
	v_fmac_f32_e32 v148, v89, v52
	v_fma_f32 v149, v89, v53, -v149
	v_fmac_f32_e32 v150, v89, v54
	;; [unrolled: 2-line block ×4, first 2 shown]
	v_fma_f32 v126, v89, v59, -v155
	v_dual_sub_f32 v48, v128, v156 :: v_dual_sub_f32 v49, v129, v49
	v_dual_sub_f32 v50, v130, v144 :: v_dual_sub_f32 v51, v131, v145
	v_dual_sub_f32 v52, v132, v146 :: v_dual_sub_f32 v53, v133, v147
	v_dual_sub_f32 v54, v134, v148 :: v_dual_sub_f32 v55, v135, v149
	v_dual_sub_f32 v56, v136, v150 :: v_dual_sub_f32 v57, v137, v151
	v_dual_sub_f32 v58, v138, v152 :: v_dual_sub_f32 v59, v139, v90
	v_sub_f32_e32 v89, v124, v154
	v_sub_f32_e32 v90, v125, v126
	v_fma_f32 v126, v128, 2.0, -v48
	v_fma_f32 v127, v129, 2.0, -v49
	v_fma_f32 v128, v130, 2.0, -v50
	v_fma_f32 v129, v131, 2.0, -v51
	v_fma_f32 v130, v132, 2.0, -v52
	v_fma_f32 v131, v133, 2.0, -v53
	v_fma_f32 v132, v134, 2.0, -v54
	v_fma_f32 v133, v135, 2.0, -v55
	v_fma_f32 v134, v136, 2.0, -v56
	v_fma_f32 v135, v137, 2.0, -v57
	v_fma_f32 v136, v138, 2.0, -v58
	v_fma_f32 v137, v139, 2.0, -v59
	v_fma_f32 v124, v124, 2.0, -v89
	v_fma_f32 v125, v125, 2.0, -v90
	ds_store_2addr_b64 v101, v[126:127], v[48:49] offset1:2
	ds_store_2addr_b64 v102, v[128:129], v[50:51] offset1:2
	;; [unrolled: 1-line block ×7, first 2 shown]
	global_wb scope:SCOPE_SE
	s_wait_dscnt 0x0
	s_barrier_signal -1
	s_barrier_wait -1
	global_inv scope:SCOPE_SE
	ds_load_2addr_b64 v[48:51], v99 offset0:80 offset1:136
	ds_load_2addr_b64 v[52:55], v99 offset0:192 offset1:248
	;; [unrolled: 1-line block ×4, first 2 shown]
	ds_load_2addr_b64 v[124:127], v96 offset1:56
	ds_load_2addr_b64 v[128:131], v96 offset0:112 offset1:168
	ds_load_2addr_b64 v[132:135], v98 offset0:96 offset1:152
	v_dual_mov_b32 v89, v141 :: v_dual_mov_b32 v90, v143
	global_wb scope:SCOPE_SE
	s_wait_dscnt 0x0
	s_barrier_signal -1
	s_barrier_wait -1
	global_inv scope:SCOPE_SE
	v_mad_co_u64_u32 v[88:89], null, s7, v88, v[89:90]
	s_load_b64 s[6:7], s[0:1], 0x38
	s_mul_u64 s[0:1], s[4:5], 0xc40
	v_mul_f32_e32 v89, v92, v51
	v_mul_f32_e32 v143, v92, v50
	;; [unrolled: 1-line block ×13, first 2 shown]
	v_dual_mul_f32 v92, v92, v103 :: v_dual_fmac_f32 v89, v91, v50
	v_fma_f32 v51, v91, v51, -v143
	v_fmac_f32_e32 v105, v91, v52
	v_fma_f32 v53, v91, v53, -v106
	v_fmac_f32_e32 v107, v91, v54
	;; [unrolled: 2-line block ×6, first 2 shown]
	v_fma_f32 v102, v91, v104, -v92
	v_dual_sub_f32 v50, v124, v89 :: v_dual_sub_f32 v51, v125, v51
	v_sub_f32_e32 v52, v126, v105
	v_dual_sub_f32 v53, v127, v53 :: v_dual_sub_f32 v54, v128, v107
	v_dual_sub_f32 v55, v129, v55 :: v_dual_sub_f32 v56, v130, v137
	;; [unrolled: 1-line block ×4, first 2 shown]
	v_sub_f32_e32 v101, v48, v146
	v_dual_sub_f32 v102, v49, v102 :: v_dual_sub_f32 v91, v134, v144
	v_fma_f32 v103, v124, 2.0, -v50
	v_fma_f32 v104, v125, 2.0, -v51
	;; [unrolled: 1-line block ×14, first 2 shown]
	ds_store_2addr_b64 v108, v[103:104], v[50:51] offset1:4
	ds_store_2addr_b64 v109, v[105:106], v[52:53] offset1:4
	;; [unrolled: 1-line block ×7, first 2 shown]
	global_wb scope:SCOPE_SE
	s_wait_dscnt 0x0
	s_wait_kmcnt 0x0
	s_barrier_signal -1
	s_barrier_wait -1
	global_inv scope:SCOPE_SE
	ds_load_2addr_b64 v[48:51], v99 offset0:80 offset1:136
	ds_load_2addr_b64 v[52:55], v99 offset0:192 offset1:248
	;; [unrolled: 1-line block ×3, first 2 shown]
	v_mad_co_u64_u32 v[100:101], null, s5, v100, v[90:91]
	v_mov_b32_e32 v141, v88
	ds_load_2addr_b64 v[88:91], v97 offset0:160 offset1:216
	v_mov_b32_e32 v143, v100
	ds_load_2addr_b64 v[100:103], v96 offset1:56
	ds_load_2addr_b64 v[104:107], v96 offset0:112 offset1:168
	ds_load_2addr_b64 v[108:111], v98 offset0:96 offset1:152
	global_wb scope:SCOPE_SE
	s_wait_dscnt 0x0
	s_barrier_signal -1
	s_barrier_wait -1
	global_inv scope:SCOPE_SE
	v_mul_f32_e32 v92, v94, v51
	v_mul_f32_e32 v114, v94, v50
	;; [unrolled: 1-line block ×14, first 2 shown]
	v_fmac_f32_e32 v92, v93, v50
	v_fma_f32 v51, v93, v51, -v114
	v_fmac_f32_e32 v124, v93, v52
	v_fma_f32 v53, v93, v53, -v125
	;; [unrolled: 2-line block ×7, first 2 shown]
	v_dual_sub_f32 v50, v100, v92 :: v_dual_sub_f32 v51, v101, v51
	v_dual_sub_f32 v52, v102, v124 :: v_dual_sub_f32 v53, v103, v53
	;; [unrolled: 1-line block ×7, first 2 shown]
	v_fma_f32 v92, v100, 2.0, -v50
	v_fma_f32 v93, v101, 2.0, -v51
	;; [unrolled: 1-line block ×14, first 2 shown]
	ds_store_2addr_b64 v115, v[92:93], v[50:51] offset1:8
	ds_store_2addr_b64 v116, v[100:101], v[52:53] offset1:8
	;; [unrolled: 1-line block ×7, first 2 shown]
	global_wb scope:SCOPE_SE
	s_wait_dscnt 0x0
	s_barrier_signal -1
	s_barrier_wait -1
	global_inv scope:SCOPE_SE
	ds_load_2addr_b64 v[52:55], v96 offset0:112 offset1:168
	ds_load_2addr_b64 v[56:59], v98 offset0:96 offset1:152
	;; [unrolled: 1-line block ×6, first 2 shown]
	s_wait_dscnt 0x4
	v_mul_f32_e32 v120, v11, v59
	s_wait_dscnt 0x3
	v_mul_f32_e32 v94, v17, v89
	v_mul_f32_e32 v92, v21, v53
	s_wait_dscnt 0x2
	v_mul_f32_e32 v116, v19, v101
	s_wait_dscnt 0x0
	v_dual_mul_f32 v118, v15, v109 :: v_dual_mul_f32 v121, v5, v91
	v_mul_f32_e32 v124, v7, v103
	v_mul_f32_e32 v125, v1, v107
	v_dual_mul_f32 v1, v1, v106 :: v_dual_mul_f32 v126, v3, v111
	v_dual_mul_f32 v3, v3, v110 :: v_dual_fmac_f32 v92, v20, v52
	v_fmac_f32_e32 v118, v14, v108
	v_fmac_f32_e32 v94, v16, v88
	v_dual_fmac_f32 v116, v18, v100 :: v_dual_fmac_f32 v121, v4, v90
	v_fmac_f32_e32 v124, v6, v102
	v_fmac_f32_e32 v125, v0, v106
	v_fma_f32 v0, v0, v107, -v1
	v_fmac_f32_e32 v126, v2, v110
	v_fma_f32 v1, v2, v111, -v3
	v_dual_add_f32 v2, v92, v118 :: v_dual_mul_f32 v117, v13, v105
	v_mul_f32_e32 v13, v13, v104
	v_mul_f32_e32 v15, v15, v108
	v_dual_mul_f32 v21, v21, v52 :: v_dual_sub_f32 v52, v124, v121
	s_delay_alu instid0(VALU_DEP_4) | instskip(NEXT) | instid1(VALU_DEP_4)
	v_fmac_f32_e32 v117, v12, v104
	v_fma_f32 v12, v12, v105, -v13
	s_delay_alu instid0(VALU_DEP_4) | instskip(SKIP_4) | instid1(VALU_DEP_4)
	v_fma_f32 v13, v14, v109, -v15
	v_dual_add_f32 v14, v94, v116 :: v_dual_mul_f32 v119, v9, v55
	v_dual_fmac_f32 v120, v10, v58 :: v_dual_mul_f32 v19, v19, v100
	v_mul_f32_e32 v11, v11, v58
	v_lshlrev_b64_e32 v[112:113], 3, v[140:141]
	v_fmac_f32_e32 v119, v8, v54
	v_mul_f32_e32 v17, v17, v88
	v_lshlrev_b64_e32 v[48:49], 3, v[142:143]
	s_delay_alu instid0(VALU_DEP_4) | instskip(NEXT) | instid1(VALU_DEP_3)
	v_add_co_u32 v50, vcc_lo, s6, v112
	v_fma_f32 v16, v16, v89, -v17
	v_fma_f32 v17, v18, v101, -v19
	v_dual_mul_f32 v93, v23, v57 :: v_dual_sub_f32 v18, v116, v94
	v_fma_f32 v20, v20, v53, -v21
	v_mul_f32_e32 v23, v23, v56
	s_delay_alu instid0(VALU_DEP_4)
	v_dual_add_f32 v15, v16, v17 :: v_dual_sub_f32 v16, v17, v16
	v_mul_f32_e32 v5, v5, v90
	v_add_f32_e32 v17, v119, v126
	v_fmac_f32_e32 v93, v22, v56
	v_add_f32_e32 v3, v20, v13
	s_wait_alu 0xfffd
	v_add_co_ci_u32_e32 v51, vcc_lo, s7, v113, vcc_lo
	v_fma_f32 v4, v4, v91, -v5
	v_mul_f32_e32 v7, v7, v102
	ds_load_2addr_b64 v[112:115], v96 offset1:56
	global_wb scope:SCOPE_SE
	s_wait_dscnt 0x0
	s_barrier_signal -1
	s_barrier_wait -1
	v_fma_f32 v5, v6, v103, -v7
	v_sub_f32_e32 v7, v20, v13
	v_sub_f32_e32 v13, v93, v117
	v_mul_f32_e32 v9, v9, v54
	v_sub_f32_e32 v6, v92, v118
	global_inv scope:SCOPE_SE
	v_add_co_u32 v48, vcc_lo, v50, v48
	v_add_f32_e32 v56, v18, v13
	v_fma_f32 v8, v8, v55, -v9
	v_fma_f32 v9, v10, v59, -v11
	s_wait_alu 0xfffd
	v_add_co_ci_u32_e32 v49, vcc_lo, v51, v49, vcc_lo
	s_mov_b32 s6, 0xa72f0539
	v_add_f32_e32 v19, v8, v1
	v_sub_f32_e32 v1, v8, v1
	v_add_f32_e32 v8, v120, v125
	v_fma_f32 v21, v22, v57, -v23
	v_sub_f32_e32 v22, v120, v125
	s_mov_b32 s7, 0x3f54e5e0
	s_delay_alu instid0(VALU_DEP_1)
	v_dual_add_f32 v11, v21, v12 :: v_dual_add_f32 v92, v52, v22
	v_sub_f32_e32 v12, v21, v12
	v_add_f32_e32 v21, v9, v0
	v_sub_f32_e32 v0, v9, v0
	v_sub_f32_e32 v94, v52, v22
	v_sub_f32_e32 v58, v18, v13
	v_dual_sub_f32 v18, v6, v18 :: v_dual_add_f32 v23, v4, v5
	v_sub_f32_e32 v4, v5, v4
	v_sub_f32_e32 v13, v13, v6
	v_add_f32_e32 v6, v56, v6
	v_mul_f32_e32 v56, 0x3f08b237, v58
	s_delay_alu instid0(VALU_DEP_4) | instskip(SKIP_4) | instid1(VALU_DEP_3)
	v_sub_f32_e32 v100, v4, v0
	v_sub_f32_e32 v90, v8, v17
	v_dual_add_f32 v10, v93, v117 :: v_dual_add_f32 v93, v4, v0
	v_sub_f32_e32 v4, v1, v4
	v_dual_add_f32 v9, v121, v124 :: v_dual_mul_f32 v58, 0x3f5ff5aa, v13
	v_sub_f32_e32 v54, v10, v2
	v_dual_add_f32 v88, v8, v17 :: v_dual_fmamk_f32 v103, v18, 0xbeae86e6, v56
	s_delay_alu instid0(VALU_DEP_3)
	v_sub_f32_e32 v8, v9, v8
	v_sub_f32_e32 v20, v119, v126
	v_add_f32_e32 v5, v10, v2
	v_sub_f32_e32 v2, v2, v14
	v_sub_f32_e32 v10, v14, v10
	v_fmac_f32_e32 v58, 0x3eae86e6, v18
	v_dual_sub_f32 v52, v20, v52 :: v_dual_sub_f32 v17, v17, v9
	v_sub_f32_e32 v22, v22, v20
	v_dual_mul_f32 v2, 0x3f4a47b2, v2 :: v_dual_add_f32 v53, v11, v3
	v_dual_add_f32 v20, v92, v20 :: v_dual_sub_f32 v55, v11, v3
	v_add_f32_e32 v5, v14, v5
	v_add_f32_e32 v9, v9, v88
	v_add_f32_e32 v88, v93, v1
	v_mul_f32_e32 v17, 0x3f4a47b2, v17
	v_dual_mul_f32 v93, 0x3f08b237, v94 :: v_dual_mul_f32 v94, 0x3f08b237, v100
	v_sub_f32_e32 v11, v15, v11
	v_add_f32_e32 v14, v15, v53
	v_dual_mul_f32 v100, 0x3f5ff5aa, v22 :: v_dual_add_f32 v89, v21, v19
	v_sub_f32_e32 v91, v21, v19
	v_sub_f32_e32 v21, v23, v21
	;; [unrolled: 1-line block ×3, first 2 shown]
	v_dual_mul_f32 v15, 0x3d64c772, v10 :: v_dual_fmamk_f32 v10, v10, 0x3d64c772, v2
	v_sub_f32_e32 v101, v0, v1
	v_dual_sub_f32 v19, v19, v23 :: v_dual_fmac_f32 v100, 0x3eae86e6, v52
	v_add_f32_e32 v57, v16, v12
	s_delay_alu instid0(VALU_DEP_4) | instskip(NEXT) | instid1(VALU_DEP_4)
	v_fma_f32 v15, 0x3f3bfb3b, v54, -v15
	v_mul_f32_e32 v102, 0x3f5ff5aa, v101
	s_delay_alu instid0(VALU_DEP_4)
	v_mul_f32_e32 v19, 0x3f4a47b2, v19
	v_fma_f32 v54, 0xbf3bfb3b, v54, -v2
	v_add_f32_e32 v2, v114, v9
	v_fmac_f32_e32 v58, 0xbee1c552, v6
	v_fmac_f32_e32 v102, 0x3eae86e6, v4
	v_sub_f32_e32 v59, v16, v12
	v_sub_f32_e32 v16, v7, v16
	v_sub_f32_e32 v12, v12, v7
	v_add_f32_e32 v7, v57, v7
	v_add_f32_e32 v1, v113, v14
	v_mul_f32_e32 v57, 0x3f08b237, v59
	v_mul_f32_e32 v92, 0x3d64c772, v21
	v_dual_fmac_f32 v103, 0xbee1c552, v6 :: v_dual_fmac_f32 v100, 0xbee1c552, v20
	v_fmac_f32_e32 v102, 0xbee1c552, v88
	s_delay_alu instid0(VALU_DEP_4) | instskip(SKIP_1) | instid1(VALU_DEP_2)
	v_dual_fmamk_f32 v104, v16, 0xbeae86e6, v57 :: v_dual_add_f32 v23, v23, v89
	v_mul_f32_e32 v89, 0x3d64c772, v8
	v_fmac_f32_e32 v104, 0xbee1c552, v7
	s_delay_alu instid0(VALU_DEP_2) | instskip(SKIP_3) | instid1(VALU_DEP_2)
	v_fma_f32 v18, 0x3f3bfb3b, v90, -v89
	v_mul_f32_e32 v59, 0x3f5ff5aa, v12
	v_fma_f32 v12, 0xbf5ff5aa, v12, -v57
	v_fmamk_f32 v57, v4, 0xbeae86e6, v94
	v_fmac_f32_e32 v12, 0xbee1c552, v7
	v_add_f32_e32 v0, v112, v5
	v_fma_f32 v13, 0xbf5ff5aa, v13, -v56
	s_delay_alu instid0(VALU_DEP_2) | instskip(SKIP_3) | instid1(VALU_DEP_4)
	v_fmamk_f32 v4, v5, 0xbf955555, v0
	v_mul_f32_e32 v3, 0x3f4a47b2, v3
	v_fmamk_f32 v5, v14, 0xbf955555, v1
	v_mul_f32_e32 v53, 0x3d64c772, v11
	v_dual_fmac_f32 v13, 0xbee1c552, v6 :: v_dual_add_f32 v14, v10, v4
	v_fmamk_f32 v6, v9, 0xbf955555, v2
	v_add_f32_e32 v10, v15, v4
	v_add_f32_e32 v15, v54, v4
	s_delay_alu instid0(VALU_DEP_4)
	v_dual_fmamk_f32 v11, v11, 0x3d64c772, v3 :: v_dual_add_f32 v4, v104, v14
	v_fmamk_f32 v8, v8, 0x3d64c772, v17
	v_fma_f32 v53, 0x3f3bfb3b, v55, -v53
	v_fma_f32 v55, 0xbf3bfb3b, v55, -v3
	;; [unrolled: 1-line block ×3, first 2 shown]
	v_sub_f32_e32 v14, v14, v104
	v_dual_fmac_f32 v57, 0xbee1c552, v88 :: v_dual_add_f32 v54, v8, v6
	v_sub_f32_e32 v8, v10, v12
	v_fmamk_f32 v56, v52, 0xbeae86e6, v93
	v_fma_f32 v89, 0xbf5ff5aa, v22, -v93
	v_fma_f32 v22, 0xbf5ff5aa, v101, -v94
	v_dual_add_f32 v3, v115, v23 :: v_dual_add_f32 v52, v18, v6
	v_fmac_f32_e32 v59, 0x3eae86e6, v16
	v_fmac_f32_e32 v56, 0xbee1c552, v20
	;; [unrolled: 1-line block ×4, first 2 shown]
	v_add_f32_e32 v88, v17, v6
	v_fmamk_f32 v16, v21, 0x3d64c772, v19
	v_fma_f32 v21, 0x3f3bfb3b, v91, -v92
	v_fma_f32 v19, 0xbf3bfb3b, v91, -v19
	s_delay_alu instid0(VALU_DEP_4)
	v_dual_fmac_f32 v59, 0xbee1c552, v7 :: v_dual_add_f32 v18, v102, v88
	v_dual_fmamk_f32 v7, v23, 0xbf955555, v3 :: v_dual_add_f32 v10, v12, v10
	v_add_f32_e32 v20, v11, v5
	v_add_f32_e32 v11, v53, v5
	;; [unrolled: 1-line block ×4, first 2 shown]
	v_sub_f32_e32 v12, v15, v59
	v_sub_f32_e32 v5, v20, v103
	v_dual_add_f32 v15, v103, v20 :: v_dual_sub_f32 v20, v52, v22
	v_dual_add_f32 v22, v22, v52 :: v_dual_add_f32 v55, v16, v7
	v_add_f32_e32 v53, v21, v7
	v_add_f32_e32 v90, v19, v7
	v_sub_f32_e32 v7, v23, v58
	v_add_f32_e32 v9, v13, v11
	v_sub_f32_e32 v11, v11, v13
	;; [unrolled: 2-line block ×3, first 2 shown]
	v_dual_sub_f32 v19, v90, v100 :: v_dual_sub_f32 v52, v88, v102
	v_add_f32_e32 v16, v57, v54
	v_sub_f32_e32 v54, v54, v57
	v_add_f32_e32 v21, v89, v53
	v_sub_f32_e32 v23, v53, v89
	v_add_f32_e32 v53, v100, v90
	v_add_f32_e32 v55, v56, v55
	ds_store_2addr_b64 v123, v[0:1], v[4:5] offset1:16
	ds_store_2addr_b64 v123, v[6:7], v[8:9] offset0:32 offset1:48
	ds_store_2addr_b64 v123, v[10:11], v[12:13] offset0:64 offset1:80
	ds_store_b64 v123, v[14:15] offset:768
	ds_store_2addr_b64 v122, v[2:3], v[16:17] offset1:16
	ds_store_2addr_b64 v122, v[18:19], v[20:21] offset0:32 offset1:48
	ds_store_2addr_b64 v122, v[22:23], v[52:53] offset0:64 offset1:80
	ds_store_b64 v122, v[54:55] offset:768
	global_wb scope:SCOPE_SE
	s_wait_dscnt 0x0
	s_barrier_signal -1
	s_barrier_wait -1
	global_inv scope:SCOPE_SE
	ds_load_2addr_b64 v[6:9], v96 offset0:112 offset1:168
	ds_load_2addr_b64 v[10:13], v98 offset0:96 offset1:152
	;; [unrolled: 1-line block ×6, first 2 shown]
	ds_load_2addr_b64 v[88:91], v96 offset1:56
	s_wait_alu 0xfffe
	v_add_co_u32 v0, vcc_lo, v48, s0
	s_wait_alu 0xfffd
	v_add_co_ci_u32_e32 v1, vcc_lo, s1, v49, vcc_lo
	s_delay_alu instid0(VALU_DEP_2) | instskip(SKIP_1) | instid1(VALU_DEP_2)
	v_add_co_u32 v2, vcc_lo, v0, s2
	s_wait_alu 0xfffd
	v_add_co_ci_u32_e32 v3, vcc_lo, s3, v1, vcc_lo
	s_delay_alu instid0(VALU_DEP_1)
	v_mad_co_u64_u32 v[4:5], null, 0x1c0, s4, v[2:3]
	s_wait_dscnt 0x6
	v_mul_f32_e32 v22, v25, v7
	s_wait_dscnt 0x5
	v_mul_f32_e32 v102, v35, v13
	;; [unrolled: 2-line block ×5, first 2 shown]
	v_mul_f32_e32 v92, v41, v15
	v_dual_mul_f32 v100, v39, v57 :: v_dual_fmac_f32 v103, v28, v16
	v_dual_fmac_f32 v104, v30, v20 :: v_dual_mul_f32 v101, v33, v9
	s_delay_alu instid0(VALU_DEP_4)
	v_fmac_f32_e32 v106, v46, v58
	v_fmac_f32_e32 v22, v24, v6
	;; [unrolled: 1-line block ×5, first 2 shown]
	v_mul_f32_e32 v93, v43, v19
	v_mul_f32_e32 v23, v25, v6
	;; [unrolled: 1-line block ×3, first 2 shown]
	v_sub_f32_e32 v20, v22, v100
	v_fmac_f32_e32 v102, v34, v12
	v_fmac_f32_e32 v93, v42, v18
	v_mul_f32_e32 v25, v27, v11
	v_mul_f32_e32 v27, v27, v10
	v_fma_f32 v6, v24, v7, -v23
	v_mul_f32_e32 v94, v37, v53
	v_sub_f32_e32 v24, v93, v92
	v_mul_f32_e32 v105, v45, v55
	v_mul_f32_e32 v29, v29, v16
	v_fma_f32 v7, v26, v11, -v27
	v_mul_f32_e32 v39, v39, v56
	v_fmac_f32_e32 v94, v36, v52
	v_fmac_f32_e32 v105, v44, v54
	v_dual_mul_f32 v43, v43, v18 :: v_dual_add_f32 v18, v22, v100
	v_mul_f32_e32 v33, v33, v8
	v_mul_f32_e32 v35, v35, v12
	v_fma_f32 v12, v28, v17, -v29
	v_sub_f32_e32 v28, v102, v105
	v_fma_f32 v11, v42, v19, -v43
	v_mul_f32_e32 v37, v37, v52
	v_fma_f32 v8, v32, v9, -v33
	v_fma_f32 v9, v34, v13, -v35
	;; [unrolled: 1-line block ×3, first 2 shown]
	v_dual_mul_f32 v47, v47, v58 :: v_dual_sub_f32 v30, v104, v103
	s_delay_alu instid0(VALU_DEP_2) | instskip(NEXT) | instid1(VALU_DEP_2)
	v_dual_add_f32 v29, v12, v13 :: v_dual_sub_f32 v12, v13, v12
	v_fma_f32 v17, v46, v59, -v47
	v_mul_f32_e32 v41, v41, v14
	v_fma_f32 v14, v36, v53, -v37
	s_delay_alu instid0(VALU_DEP_1) | instskip(SKIP_4) | instid1(VALU_DEP_3)
	v_dual_add_f32 v42, v30, v28 :: v_dual_add_f32 v21, v7, v14
	v_dual_sub_f32 v7, v7, v14 :: v_dual_add_f32 v14, v92, v93
	v_fmac_f32_e32 v25, v26, v10
	v_fma_f32 v10, v40, v15, -v41
	v_fma_f32 v15, v38, v57, -v39
	v_sub_f32_e32 v22, v25, v94
	v_mul_f32_e32 v45, v45, v54
	s_delay_alu instid0(VALU_DEP_3) | instskip(SKIP_1) | instid1(VALU_DEP_4)
	v_add_f32_e32 v19, v6, v15
	v_dual_sub_f32 v6, v6, v15 :: v_dual_add_f32 v15, v25, v94
	v_add_f32_e32 v34, v24, v22
	v_sub_f32_e32 v36, v24, v22
	v_sub_f32_e32 v22, v22, v20
	v_fma_f32 v16, v44, v55, -v45
	v_dual_sub_f32 v44, v30, v28 :: v_dual_add_f32 v25, v8, v17
	v_sub_f32_e32 v8, v8, v17
	v_sub_f32_e32 v24, v20, v24
	s_delay_alu instid0(VALU_DEP_4)
	v_add_f32_e32 v27, v9, v16
	v_add_f32_e32 v20, v34, v20
	v_sub_f32_e32 v38, v7, v6
	v_sub_f32_e32 v26, v101, v106
	;; [unrolled: 1-line block ×3, first 2 shown]
	v_dual_add_f32 v23, v10, v11 :: v_dual_mul_f32 v34, 0x3f08b237, v36
	v_sub_f32_e32 v10, v11, v10
	s_delay_alu instid0(VALU_DEP_4)
	v_sub_f32_e32 v30, v26, v30
	v_sub_f32_e32 v28, v28, v26
	v_add_f32_e32 v26, v42, v26
	v_dual_sub_f32 v46, v9, v8 :: v_dual_add_f32 v17, v102, v105
	v_mul_f32_e32 v36, 0x3f5ff5aa, v22
	v_add_f32_e32 v13, v15, v18
	s_delay_alu instid0(VALU_DEP_3)
	v_dual_add_f32 v31, v21, v19 :: v_dual_mul_f32 v52, 0x3f5ff5aa, v46
	v_add_f32_e32 v11, v101, v106
	v_add_f32_e32 v43, v12, v9
	v_sub_f32_e32 v45, v12, v9
	v_sub_f32_e32 v12, v8, v12
	v_add_f32_e32 v16, v103, v104
	v_sub_f32_e32 v32, v15, v18
	v_sub_f32_e32 v18, v18, v14
	;; [unrolled: 1-line block ×3, first 2 shown]
	v_dual_sub_f32 v37, v10, v7 :: v_dual_fmac_f32 v52, 0x3eae86e6, v12
	v_add_f32_e32 v13, v14, v13
	v_sub_f32_e32 v33, v21, v19
	v_dual_sub_f32 v19, v19, v23 :: v_dual_fmac_f32 v36, 0x3eae86e6, v24
	v_dual_add_f32 v14, v23, v31 :: v_dual_mul_f32 v45, 0x3f08b237, v45
	v_add_f32_e32 v35, v10, v7
	v_fma_f32 v22, 0xbf5ff5aa, v22, -v34
	v_dual_add_f32 v7, v17, v11 :: v_dual_sub_f32 v10, v6, v10
	v_dual_sub_f32 v40, v17, v11 :: v_dual_sub_f32 v11, v11, v16
	v_sub_f32_e32 v17, v16, v17
	v_dual_mul_f32 v9, 0x3f4a47b2, v18 :: v_dual_mul_f32 v18, 0x3f4a47b2, v19
	v_fmac_f32_e32 v22, 0xbee1c552, v20
	v_dual_add_f32 v16, v16, v7 :: v_dual_sub_f32 v21, v23, v21
	s_wait_dscnt 0x0
	v_dual_add_f32 v23, v35, v6 :: v_dual_add_f32 v6, v88, v13
	v_add_f32_e32 v39, v27, v25
	v_sub_f32_e32 v41, v27, v25
	v_dual_mul_f32 v35, 0x3f08b237, v37 :: v_dual_mul_f32 v44, 0x3f08b237, v44
	v_dual_sub_f32 v25, v25, v29 :: v_dual_fmac_f32 v36, 0xbee1c552, v20
	v_sub_f32_e32 v27, v29, v27
	v_add_f32_e32 v29, v29, v39
	v_add_f32_e32 v39, v43, v8
	v_dual_add_f32 v7, v89, v14 :: v_dual_add_f32 v8, v90, v16
	v_mul_f32_e32 v31, 0x3d64c772, v21
	v_mul_f32_e32 v37, 0x3f5ff5aa, v38
	v_fmamk_f32 v21, v21, 0x3d64c772, v18
	v_fma_f32 v18, 0xbf3bfb3b, v33, -v18
	v_fmac_f32_e32 v52, 0xbee1c552, v39
	v_fma_f32 v31, 0x3f3bfb3b, v33, -v31
	v_fmamk_f32 v33, v24, 0xbeae86e6, v34
	v_fma_f32 v34, 0xbf5ff5aa, v38, -v35
	v_fmamk_f32 v38, v12, 0xbeae86e6, v45
	v_dual_fmamk_f32 v12, v13, 0xbf955555, v6 :: v_dual_fmamk_f32 v13, v14, 0xbf955555, v7
	v_fmamk_f32 v14, v16, 0xbf955555, v8
	v_mul_f32_e32 v11, 0x3f4a47b2, v11
	v_fmamk_f32 v53, v10, 0xbeae86e6, v35
	v_fmac_f32_e32 v37, 0x3eae86e6, v10
	v_fmac_f32_e32 v33, 0xbee1c552, v20
	v_mul_f32_e32 v47, 0x3f5ff5aa, v28
	v_dual_fmamk_f32 v10, v17, 0x3d64c772, v11 :: v_dual_mul_f32 v19, 0x3d64c772, v15
	v_fmamk_f32 v15, v15, 0x3d64c772, v9
	v_fma_f32 v11, 0xbf3bfb3b, v40, -v11
	v_fmamk_f32 v35, v30, 0xbeae86e6, v44
	v_fmac_f32_e32 v47, 0x3eae86e6, v30
	v_fma_f32 v19, 0x3f3bfb3b, v32, -v19
	v_add_f32_e32 v20, v15, v12
	v_fma_f32 v32, 0xbf3bfb3b, v32, -v9
	v_add_f32_e32 v9, v91, v29
	v_fmac_f32_e32 v35, 0xbee1c552, v26
	v_fmac_f32_e32 v47, 0xbee1c552, v26
	s_delay_alu instid0(VALU_DEP_3) | instskip(SKIP_2) | instid1(VALU_DEP_2)
	v_dual_add_f32 v19, v19, v12 :: v_dual_fmamk_f32 v16, v29, 0xbf955555, v9
	v_mul_f32_e32 v42, 0x3d64c772, v17
	v_add_f32_e32 v29, v18, v13
	v_fma_f32 v24, 0x3f3bfb3b, v40, -v42
	v_fma_f32 v40, 0xbf5ff5aa, v28, -v44
	;; [unrolled: 1-line block ×3, first 2 shown]
	s_delay_alu instid0(VALU_DEP_3) | instskip(NEXT) | instid1(VALU_DEP_3)
	v_add_f32_e32 v30, v24, v14
	v_fmac_f32_e32 v40, 0xbee1c552, v26
	v_add_f32_e32 v26, v32, v12
	v_fmac_f32_e32 v34, 0xbee1c552, v23
	v_mul_f32_e32 v25, 0x3f4a47b2, v25
	v_fmac_f32_e32 v37, 0xbee1c552, v23
	v_fmac_f32_e32 v53, 0xbee1c552, v23
	v_mul_f32_e32 v43, 0x3d64c772, v27
	v_add_f32_e32 v23, v31, v13
	v_dual_fmamk_f32 v17, v27, 0x3d64c772, v25 :: v_dual_add_f32 v32, v10, v14
	v_add_f32_e32 v12, v37, v26
	v_fmac_f32_e32 v38, 0xbee1c552, v39
	v_fma_f32 v25, 0xbf3bfb3b, v41, -v25
	s_delay_alu instid0(VALU_DEP_4)
	v_dual_fmac_f32 v28, 0xbee1c552, v39 :: v_dual_add_f32 v39, v17, v16
	v_dual_add_f32 v10, v53, v20 :: v_dual_add_f32 v15, v22, v23
	v_dual_sub_f32 v17, v23, v22 :: v_dual_sub_f32 v20, v20, v53
	v_fma_f32 v27, 0x3f3bfb3b, v41, -v43
	v_add_f32_e32 v22, v38, v32
	v_dual_sub_f32 v32, v32, v38 :: v_dual_add_f32 v21, v21, v13
	v_add_f32_e32 v41, v11, v14
	s_delay_alu instid0(VALU_DEP_4)
	v_add_f32_e32 v31, v27, v16
	v_add_f32_e32 v42, v25, v16
	v_sub_f32_e32 v13, v29, v36
	v_dual_sub_f32 v11, v21, v33 :: v_dual_sub_f32 v14, v19, v34
	v_add_f32_e32 v16, v34, v19
	v_sub_f32_e32 v18, v26, v37
	v_add_f32_e32 v19, v36, v29
	v_add_f32_e32 v21, v33, v21
	v_dual_sub_f32 v23, v39, v35 :: v_dual_add_f32 v24, v52, v41
	v_sub_f32_e32 v25, v42, v47
	v_dual_sub_f32 v26, v30, v28 :: v_dual_add_f32 v27, v40, v31
	v_dual_add_f32 v28, v28, v30 :: v_dual_sub_f32 v29, v31, v40
	v_dual_sub_f32 v30, v41, v52 :: v_dual_add_f32 v31, v47, v42
	v_add_f32_e32 v33, v35, v39
	ds_store_b64 v96, v[10:11] offset:896
	ds_store_b64 v96, v[12:13] offset:1792
	;; [unrolled: 1-line block ×6, first 2 shown]
	ds_store_2addr_b64 v96, v[6:7], v[8:9] offset1:56
	ds_store_b64 v96, v[22:23] offset:1344
	ds_store_b64 v96, v[24:25] offset:2240
	;; [unrolled: 1-line block ×6, first 2 shown]
	global_wb scope:SCOPE_SE
	s_wait_dscnt 0x0
	s_barrier_signal -1
	s_barrier_wait -1
	global_inv scope:SCOPE_SE
	ds_load_2addr_b64 v[6:9], v96 offset1:56
	ds_load_2addr_b64 v[10:13], v99 offset0:80 offset1:136
	ds_load_2addr_b64 v[14:17], v99 offset0:192 offset1:248
	;; [unrolled: 1-line block ×5, first 2 shown]
	v_mad_co_u64_u32 v[34:35], null, s4, v95, 0
	s_wait_dscnt 0x5
	v_mad_co_u64_u32 v[30:31], null, 0x1c0, s5, v[5:6]
	v_mul_f32_e32 v36, v69, v7
	v_mul_f32_e32 v37, v69, v6
	s_wait_dscnt 0x4
	v_mul_f32_e32 v38, v61, v13
	v_dual_mul_f32 v39, v61, v12 :: v_dual_mul_f32 v40, v67, v9
	v_mul_f32_e32 v41, v67, v8
	v_mov_b32_e32 v5, v30
	ds_load_2addr_b64 v[30:33], v97 offset0:160 offset1:216
	s_wait_dscnt 0x4
	v_mul_f32_e32 v42, v75, v15
	s_wait_dscnt 0x3
	v_dual_mul_f32 v43, v75, v14 :: v_dual_mul_f32 v44, v65, v19
	v_mul_f32_e32 v45, v65, v18
	v_mul_f32_e32 v46, v73, v17
	v_dual_mul_f32 v47, v73, v16 :: v_dual_fmac_f32 v36, v68, v6
	v_fma_f32 v37, v68, v7, -v37
	v_mul_f32_e32 v52, v63, v21
	v_mul_f32_e32 v53, v63, v20
	s_wait_dscnt 0x2
	v_mul_f32_e32 v54, v71, v23
	v_mul_f32_e32 v55, v71, v22
	;; [unrolled: 1-line block ×3, first 2 shown]
	v_dual_mul_f32 v71, v85, v10 :: v_dual_fmac_f32 v38, v60, v12
	v_fma_f32 v12, v60, v13, -v39
	v_fmac_f32_e32 v40, v66, v8
	v_fma_f32 v39, v66, v9, -v41
	s_wait_dscnt 0x1
	v_mul_f32_e32 v56, v81, v27
	v_mul_f32_e32 v57, v81, v26
	v_fmac_f32_e32 v42, v74, v14
	v_fma_f32 v41, v74, v15, -v43
	v_mul_f32_e32 v58, v77, v25
	v_dual_mul_f32 v59, v77, v24 :: v_dual_fmac_f32 v44, v64, v18
	v_fma_f32 v43, v64, v19, -v45
	s_delay_alu instid0(VALU_DEP_3)
	v_dual_mul_f32 v61, v79, v29 :: v_dual_fmac_f32 v58, v76, v24
	v_mul_f32_e32 v63, v79, v28
	v_fmac_f32_e32 v46, v72, v16
	v_fma_f32 v45, v72, v17, -v47
	v_cvt_f64_f32_e32 v[6:7], v36
	v_cvt_f64_f32_e32 v[8:9], v37
	s_wait_dscnt 0x0
	v_mul_f32_e32 v65, v83, v31
	v_mul_f32_e32 v67, v83, v30
	;; [unrolled: 1-line block ×4, first 2 shown]
	v_fmac_f32_e32 v52, v62, v20
	v_fma_f32 v47, v62, v21, -v53
	v_fmac_f32_e32 v69, v84, v10
	v_fma_f32 v62, v84, v11, -v71
	v_cvt_f64_f32_e32 v[10:11], v38
	v_cvt_f64_f32_e32 v[12:13], v12
	v_fmac_f32_e32 v54, v70, v22
	v_fma_f32 v53, v70, v23, -v55
	v_cvt_f64_f32_e32 v[14:15], v40
	v_cvt_f64_f32_e32 v[16:17], v39
	;; [unrolled: 4-line block ×3, first 2 shown]
	v_fma_f32 v57, v76, v25, -v59
	v_cvt_f64_f32_e32 v[22:23], v44
	v_cvt_f64_f32_e32 v[24:25], v43
	v_fmac_f32_e32 v61, v78, v28
	v_fma_f32 v59, v78, v29, -v63
	v_cvt_f64_f32_e32 v[26:27], v46
	v_cvt_f64_f32_e32 v[28:29], v45
	v_fmac_f32_e32 v65, v82, v30
	v_fma_f32 v60, v82, v31, -v67
	v_fmac_f32_e32 v73, v86, v32
	v_fma_f32 v66, v86, v33, -v75
	v_cvt_f64_f32_e32 v[30:31], v52
	v_cvt_f64_f32_e32 v[32:33], v47
	;; [unrolled: 1-line block ×16, first 2 shown]
	v_mul_f64_e32 v[6:7], s[6:7], v[6:7]
	v_mul_f64_e32 v[8:9], s[6:7], v[8:9]
	;; [unrolled: 1-line block ×4, first 2 shown]
	v_add_co_u32 v68, vcc_lo, v4, s0
	v_mul_f64_e32 v[14:15], s[6:7], v[14:15]
	v_mul_f64_e32 v[16:17], s[6:7], v[16:17]
	s_wait_alu 0xfffd
	v_add_co_ci_u32_e32 v69, vcc_lo, s1, v5, vcc_lo
	v_mul_f64_e32 v[18:19], s[6:7], v[18:19]
	v_mul_f64_e32 v[20:21], s[6:7], v[20:21]
	;; [unrolled: 1-line block ×4, first 2 shown]
	v_add_co_u32 v70, vcc_lo, v68, s2
	v_mul_f64_e32 v[26:27], s[6:7], v[26:27]
	v_mul_f64_e32 v[28:29], s[6:7], v[28:29]
	s_wait_alu 0xfffd
	v_add_co_ci_u32_e32 v71, vcc_lo, s3, v69, vcc_lo
	v_add_co_u32 v72, vcc_lo, v70, s0
	v_mul_f64_e32 v[30:31], s[6:7], v[30:31]
	v_mul_f64_e32 v[32:33], s[6:7], v[32:33]
	;; [unrolled: 1-line block ×16, first 2 shown]
	v_cvt_f32_f64_e32 v6, v[6:7]
	v_cvt_f32_f64_e32 v7, v[8:9]
	;; [unrolled: 1-line block ×4, first 2 shown]
	s_wait_alu 0xfffd
	v_add_co_ci_u32_e32 v73, vcc_lo, s1, v71, vcc_lo
	v_cvt_f32_f64_e32 v10, v[14:15]
	v_cvt_f32_f64_e32 v11, v[16:17]
	;; [unrolled: 1-line block ×14, first 2 shown]
	v_mad_co_u64_u32 v[74:75], null, s5, v95, v[35:36]
	v_cvt_f32_f64_e32 v24, v[44:45]
	v_cvt_f32_f64_e32 v25, v[46:47]
	v_add_co_u32 v75, vcc_lo, v72, s2
	v_cvt_f32_f64_e32 v26, v[52:53]
	v_cvt_f32_f64_e32 v27, v[54:55]
	;; [unrolled: 1-line block ×4, first 2 shown]
	s_wait_alu 0xfffd
	v_add_co_ci_u32_e32 v76, vcc_lo, s3, v73, vcc_lo
	v_cvt_f32_f64_e32 v30, v[60:61]
	v_cvt_f32_f64_e32 v31, v[62:63]
	;; [unrolled: 1-line block ×4, first 2 shown]
	v_add_co_u32 v36, vcc_lo, v75, s0
	s_wait_alu 0xfffd
	v_add_co_ci_u32_e32 v37, vcc_lo, s1, v76, vcc_lo
	v_mov_b32_e32 v35, v74
	s_delay_alu instid0(VALU_DEP_3) | instskip(SKIP_1) | instid1(VALU_DEP_3)
	v_add_co_u32 v38, vcc_lo, v36, s2
	s_wait_alu 0xfffd
	v_add_co_ci_u32_e32 v39, vcc_lo, s3, v37, vcc_lo
	s_delay_alu instid0(VALU_DEP_3) | instskip(NEXT) | instid1(VALU_DEP_3)
	v_lshlrev_b64_e32 v[34:35], 3, v[34:35]
	v_add_co_u32 v40, vcc_lo, v38, s0
	s_wait_alu 0xfffd
	s_delay_alu instid0(VALU_DEP_3) | instskip(NEXT) | instid1(VALU_DEP_2)
	v_add_co_ci_u32_e32 v41, vcc_lo, s1, v39, vcc_lo
	v_add_co_u32 v42, vcc_lo, v40, s2
	s_wait_alu 0xfffd
	s_delay_alu instid0(VALU_DEP_2)
	v_add_co_ci_u32_e32 v43, vcc_lo, s3, v41, vcc_lo
	v_add_co_u32 v34, vcc_lo, v50, v34
	s_wait_alu 0xfffd
	v_add_co_ci_u32_e32 v35, vcc_lo, v51, v35, vcc_lo
	v_add_co_u32 v44, vcc_lo, v42, s0
	s_wait_alu 0xfffd
	v_add_co_ci_u32_e32 v45, vcc_lo, s1, v43, vcc_lo
	s_clause 0x5
	global_store_b64 v[48:49], v[6:7], off
	global_store_b64 v[0:1], v[8:9], off
	global_store_b64 v[2:3], v[10:11], off
	global_store_b64 v[34:35], v[12:13], off
	global_store_b64 v[4:5], v[14:15], off
	global_store_b64 v[68:69], v[16:17], off
	global_store_b64 v[70:71], v[18:19], off
	global_store_b64 v[72:73], v[20:21], off
	global_store_b64 v[75:76], v[22:23], off
	global_store_b64 v[36:37], v[24:25], off
	global_store_b64 v[38:39], v[26:27], off
	global_store_b64 v[40:41], v[28:29], off
	global_store_b64 v[42:43], v[30:31], off
	global_store_b64 v[44:45], v[32:33], off
.LBB0_2:
	s_nop 0
	s_sendmsg sendmsg(MSG_DEALLOC_VGPRS)
	s_endpgm
	.section	.rodata,"a",@progbits
	.p2align	6, 0x0
	.amdhsa_kernel bluestein_single_fwd_len784_dim1_sp_op_CI_CI
		.amdhsa_group_segment_fixed_size 6272
		.amdhsa_private_segment_fixed_size 0
		.amdhsa_kernarg_size 104
		.amdhsa_user_sgpr_count 2
		.amdhsa_user_sgpr_dispatch_ptr 0
		.amdhsa_user_sgpr_queue_ptr 0
		.amdhsa_user_sgpr_kernarg_segment_ptr 1
		.amdhsa_user_sgpr_dispatch_id 0
		.amdhsa_user_sgpr_private_segment_size 0
		.amdhsa_wavefront_size32 1
		.amdhsa_uses_dynamic_stack 0
		.amdhsa_enable_private_segment 0
		.amdhsa_system_sgpr_workgroup_id_x 1
		.amdhsa_system_sgpr_workgroup_id_y 0
		.amdhsa_system_sgpr_workgroup_id_z 0
		.amdhsa_system_sgpr_workgroup_info 0
		.amdhsa_system_vgpr_workitem_id 0
		.amdhsa_next_free_vgpr 163
		.amdhsa_next_free_sgpr 20
		.amdhsa_reserve_vcc 1
		.amdhsa_float_round_mode_32 0
		.amdhsa_float_round_mode_16_64 0
		.amdhsa_float_denorm_mode_32 3
		.amdhsa_float_denorm_mode_16_64 3
		.amdhsa_fp16_overflow 0
		.amdhsa_workgroup_processor_mode 1
		.amdhsa_memory_ordered 1
		.amdhsa_forward_progress 0
		.amdhsa_round_robin_scheduling 0
		.amdhsa_exception_fp_ieee_invalid_op 0
		.amdhsa_exception_fp_denorm_src 0
		.amdhsa_exception_fp_ieee_div_zero 0
		.amdhsa_exception_fp_ieee_overflow 0
		.amdhsa_exception_fp_ieee_underflow 0
		.amdhsa_exception_fp_ieee_inexact 0
		.amdhsa_exception_int_div_zero 0
	.end_amdhsa_kernel
	.text
.Lfunc_end0:
	.size	bluestein_single_fwd_len784_dim1_sp_op_CI_CI, .Lfunc_end0-bluestein_single_fwd_len784_dim1_sp_op_CI_CI
                                        ; -- End function
	.section	.AMDGPU.csdata,"",@progbits
; Kernel info:
; codeLenInByte = 13212
; NumSgprs: 22
; NumVgprs: 163
; ScratchSize: 0
; MemoryBound: 0
; FloatMode: 240
; IeeeMode: 1
; LDSByteSize: 6272 bytes/workgroup (compile time only)
; SGPRBlocks: 2
; VGPRBlocks: 20
; NumSGPRsForWavesPerEU: 22
; NumVGPRsForWavesPerEU: 163
; Occupancy: 9
; WaveLimiterHint : 1
; COMPUTE_PGM_RSRC2:SCRATCH_EN: 0
; COMPUTE_PGM_RSRC2:USER_SGPR: 2
; COMPUTE_PGM_RSRC2:TRAP_HANDLER: 0
; COMPUTE_PGM_RSRC2:TGID_X_EN: 1
; COMPUTE_PGM_RSRC2:TGID_Y_EN: 0
; COMPUTE_PGM_RSRC2:TGID_Z_EN: 0
; COMPUTE_PGM_RSRC2:TIDIG_COMP_CNT: 0
	.text
	.p2alignl 7, 3214868480
	.fill 96, 4, 3214868480
	.type	__hip_cuid_7c4ce0b54373a407,@object ; @__hip_cuid_7c4ce0b54373a407
	.section	.bss,"aw",@nobits
	.globl	__hip_cuid_7c4ce0b54373a407
__hip_cuid_7c4ce0b54373a407:
	.byte	0                               ; 0x0
	.size	__hip_cuid_7c4ce0b54373a407, 1

	.ident	"AMD clang version 19.0.0git (https://github.com/RadeonOpenCompute/llvm-project roc-6.4.0 25133 c7fe45cf4b819c5991fe208aaa96edf142730f1d)"
	.section	".note.GNU-stack","",@progbits
	.addrsig
	.addrsig_sym __hip_cuid_7c4ce0b54373a407
	.amdgpu_metadata
---
amdhsa.kernels:
  - .args:
      - .actual_access:  read_only
        .address_space:  global
        .offset:         0
        .size:           8
        .value_kind:     global_buffer
      - .actual_access:  read_only
        .address_space:  global
        .offset:         8
        .size:           8
        .value_kind:     global_buffer
      - .actual_access:  read_only
        .address_space:  global
        .offset:         16
        .size:           8
        .value_kind:     global_buffer
      - .actual_access:  read_only
        .address_space:  global
        .offset:         24
        .size:           8
        .value_kind:     global_buffer
      - .actual_access:  read_only
        .address_space:  global
        .offset:         32
        .size:           8
        .value_kind:     global_buffer
      - .offset:         40
        .size:           8
        .value_kind:     by_value
      - .address_space:  global
        .offset:         48
        .size:           8
        .value_kind:     global_buffer
      - .address_space:  global
        .offset:         56
        .size:           8
        .value_kind:     global_buffer
      - .address_space:  global
        .offset:         64
        .size:           8
        .value_kind:     global_buffer
      - .address_space:  global
        .offset:         72
        .size:           8
        .value_kind:     global_buffer
      - .offset:         80
        .size:           4
        .value_kind:     by_value
      - .address_space:  global
        .offset:         88
        .size:           8
        .value_kind:     global_buffer
      - .address_space:  global
        .offset:         96
        .size:           8
        .value_kind:     global_buffer
    .group_segment_fixed_size: 6272
    .kernarg_segment_align: 8
    .kernarg_segment_size: 104
    .language:       OpenCL C
    .language_version:
      - 2
      - 0
    .max_flat_workgroup_size: 56
    .name:           bluestein_single_fwd_len784_dim1_sp_op_CI_CI
    .private_segment_fixed_size: 0
    .sgpr_count:     22
    .sgpr_spill_count: 0
    .symbol:         bluestein_single_fwd_len784_dim1_sp_op_CI_CI.kd
    .uniform_work_group_size: 1
    .uses_dynamic_stack: false
    .vgpr_count:     163
    .vgpr_spill_count: 0
    .wavefront_size: 32
    .workgroup_processor_mode: 1
amdhsa.target:   amdgcn-amd-amdhsa--gfx1201
amdhsa.version:
  - 1
  - 2
...

	.end_amdgpu_metadata
